;; amdgpu-corpus repo=ROCm/rocFFT kind=compiled arch=gfx1201 opt=O3
	.text
	.amdgcn_target "amdgcn-amd-amdhsa--gfx1201"
	.amdhsa_code_object_version 6
	.protected	bluestein_single_fwd_len1078_dim1_dp_op_CI_CI ; -- Begin function bluestein_single_fwd_len1078_dim1_dp_op_CI_CI
	.globl	bluestein_single_fwd_len1078_dim1_dp_op_CI_CI
	.p2align	8
	.type	bluestein_single_fwd_len1078_dim1_dp_op_CI_CI,@function
bluestein_single_fwd_len1078_dim1_dp_op_CI_CI: ; @bluestein_single_fwd_len1078_dim1_dp_op_CI_CI
; %bb.0:
	s_load_b128 s[16:19], s[0:1], 0x28
	v_mul_u32_u24_e32 v1, 0x354, v0
	s_mov_b32 s2, exec_lo
	s_delay_alu instid0(VALU_DEP_1) | instskip(NEXT) | instid1(VALU_DEP_1)
	v_lshrrev_b32_e32 v1, 16, v1
	v_mad_co_u64_u32 v[180:181], null, ttmp9, 3, v[1:2]
	v_mov_b32_e32 v181, 0
                                        ; kill: def $vgpr2 killed $sgpr0 killed $exec
	s_wait_kmcnt 0x0
	s_delay_alu instid0(VALU_DEP_1)
	v_cmpx_gt_u64_e64 s[16:17], v[180:181]
	s_cbranch_execz .LBB0_10
; %bb.1:
	s_clause 0x1
	s_load_b128 s[4:7], s[0:1], 0x18
	s_load_b128 s[8:11], s[0:1], 0x0
	v_mul_lo_u16 v1, 0x4d, v1
	s_movk_i32 s2, 0xe320
	s_mov_b32 s3, -1
	v_mul_hi_u32 v114, 0xaaaaaaab, v180
	s_load_b64 s[0:1], s[0:1], 0x38
	v_sub_nc_u16 v16, v0, v1
	s_delay_alu instid0(VALU_DEP_1) | instskip(NEXT) | instid1(VALU_DEP_3)
	v_and_b32_e32 v202, 0xffff, v16
	v_lshrrev_b32_e32 v114, 1, v114
	s_delay_alu instid0(VALU_DEP_1)
	v_lshl_add_u32 v114, v114, 1, v114
	s_wait_kmcnt 0x0
	s_load_b128 s[12:15], s[4:5], 0x0
	s_wait_kmcnt 0x0
	v_mad_co_u64_u32 v[0:1], null, s14, v180, 0
	v_mad_co_u64_u32 v[2:3], null, s12, v202, 0
	s_mul_u64 s[4:5], s[12:13], 0x21b0
	s_mul_u64 s[2:3], s[12:13], s[2:3]
	s_delay_alu instid0(VALU_DEP_1) | instskip(NEXT) | instid1(VALU_DEP_1)
	v_mad_co_u64_u32 v[4:5], null, s15, v180, v[1:2]
	v_mov_b32_e32 v1, v4
	s_delay_alu instid0(VALU_DEP_3)
	v_mad_co_u64_u32 v[5:6], null, s13, v202, v[3:4]
	v_lshlrev_b32_e32 v17, 4, v202
	s_clause 0x2
	global_load_b128 v[115:118], v17, s[8:9] offset:8624
	global_load_b128 v[119:122], v17, s[8:9]
	global_load_b128 v[123:126], v17, s[8:9] offset:1232
	v_mov_b32_e32 v3, v5
	v_lshlrev_b64_e32 v[0:1], 4, v[0:1]
	s_clause 0x7
	global_load_b128 v[127:130], v17, s[8:9] offset:9856
	global_load_b128 v[131:134], v17, s[8:9] offset:11088
	;; [unrolled: 1-line block ×8, first 2 shown]
	v_lshlrev_b64_e32 v[2:3], 4, v[2:3]
	global_load_b128 v[159:162], v17, s[8:9] offset:14784
	v_add_co_u32 v0, vcc_lo, s18, v0
	v_add_co_ci_u32_e32 v1, vcc_lo, s19, v1, vcc_lo
	s_delay_alu instid0(VALU_DEP_2) | instskip(SKIP_1) | instid1(VALU_DEP_2)
	v_add_co_u32 v0, vcc_lo, v0, v2
	s_wait_alu 0xfffd
	v_add_co_ci_u32_e32 v1, vcc_lo, v1, v3, vcc_lo
	s_delay_alu instid0(VALU_DEP_2) | instskip(SKIP_1) | instid1(VALU_DEP_2)
	v_add_co_u32 v4, vcc_lo, v0, s4
	s_wait_alu 0xfffd
	;; [unrolled: 4-line block ×3, first 2 shown]
	v_add_co_ci_u32_e32 v9, vcc_lo, s3, v5, vcc_lo
	s_clause 0x1
	global_load_b128 v[0:3], v[0:1], off
	global_load_b128 v[4:7], v[4:5], off
	v_add_co_u32 v12, vcc_lo, v8, s4
	s_wait_alu 0xfffd
	v_add_co_ci_u32_e32 v13, vcc_lo, s5, v9, vcc_lo
	s_delay_alu instid0(VALU_DEP_2) | instskip(SKIP_1) | instid1(VALU_DEP_2)
	v_add_co_u32 v18, vcc_lo, v12, s2
	s_wait_alu 0xfffd
	v_add_co_ci_u32_e32 v19, vcc_lo, s3, v13, vcc_lo
	s_clause 0x1
	global_load_b128 v[8:11], v[8:9], off
	global_load_b128 v[12:15], v[12:13], off
	v_add_co_u32 v22, vcc_lo, v18, s4
	s_wait_alu 0xfffd
	v_add_co_ci_u32_e32 v23, vcc_lo, s5, v19, vcc_lo
	global_load_b128 v[18:21], v[18:19], off
	v_add_co_u32 v26, vcc_lo, v22, s2
	s_wait_alu 0xfffd
	v_add_co_ci_u32_e32 v27, vcc_lo, s3, v23, vcc_lo
	;; [unrolled: 4-line block ×8, first 2 shown]
	v_add_co_u32 v187, s2, 0x4d, v202
	s_delay_alu instid0(VALU_DEP_3) | instskip(SKIP_1) | instid1(VALU_DEP_3)
	v_add_co_u32 v54, vcc_lo, v50, s4
	s_wait_alu 0xfffd
	v_add_co_ci_u32_e32 v55, vcc_lo, s5, v51, vcc_lo
	global_load_b128 v[46:49], v[46:47], off
	global_load_b128 v[163:166], v17, s[8:9] offset:7392
	global_load_b128 v[50:53], v[50:51], off
	global_load_b128 v[167:170], v17, s[8:9] offset:16016
	global_load_b128 v[54:57], v[54:55], off
	s_load_b128 s[4:7], s[6:7], 0x0
	v_cmp_gt_u16_e32 vcc_lo, 21, v16
	s_wait_loadcnt 0x1b
	scratch_store_b128 off, v[115:118], off offset:80 ; 16-byte Folded Spill
	s_wait_loadcnt 0x1a
	scratch_store_b128 off, v[119:122], off offset:96 ; 16-byte Folded Spill
	;; [unrolled: 2-line block ×4, first 2 shown]
	s_wait_loadcnt 0x16
	s_clause 0x1
	scratch_store_b128 off, v[135:138], off offset:160
	scratch_store_b128 off, v[131:134], off offset:144
	s_wait_loadcnt 0x15
	scratch_store_b128 off, v[139:142], off offset:176 ; 16-byte Folded Spill
	s_wait_loadcnt 0x14
	scratch_store_b128 off, v[143:146], off offset:192 ; 16-byte Folded Spill
	s_wait_loadcnt 0x12
	s_clause 0x1
	scratch_store_b128 off, v[151:154], off offset:224
	scratch_store_b128 off, v[147:150], off offset:208
	s_wait_loadcnt 0x11
	scratch_store_b128 off, v[155:158], off offset:240 ; 16-byte Folded Spill
	s_wait_loadcnt 0x10
	scratch_store_b128 off, v[159:162], off offset:256 ; 16-byte Folded Spill
	s_wait_loadcnt 0xf
	v_mul_f64_e32 v[58:59], v[2:3], v[121:122]
	v_mul_f64_e32 v[60:61], v[0:1], v[121:122]
	s_wait_loadcnt 0xe
	v_mul_f64_e32 v[62:63], v[6:7], v[117:118]
	v_mul_f64_e32 v[64:65], v[4:5], v[117:118]
	;; [unrolled: 3-line block ×9, first 2 shown]
	v_fma_f64 v[0:1], v[0:1], v[119:120], v[58:59]
	v_fma_f64 v[2:3], v[2:3], v[119:120], -v[60:61]
	v_fma_f64 v[4:5], v[4:5], v[115:116], v[62:63]
	s_wait_loadcnt 0x6
	v_mul_f64_e32 v[94:95], v[40:41], v[149:150]
	v_mul_f64_e32 v[96:97], v[38:39], v[149:150]
	v_fma_f64 v[6:7], v[6:7], v[115:116], -v[64:65]
	v_sub_nc_u32_e32 v58, v180, v114
	s_wait_loadcnt 0x5
	v_mul_f64_e32 v[98:99], v[44:45], v[157:158]
	v_mul_f64_e32 v[100:101], v[42:43], v[157:158]
	v_fma_f64 v[8:9], v[8:9], v[123:124], v[66:67]
	v_fma_f64 v[10:11], v[10:11], v[123:124], -v[68:69]
	v_fma_f64 v[12:13], v[12:13], v[127:128], v[70:71]
	v_fma_f64 v[14:15], v[14:15], v[127:128], -v[72:73]
	v_mul_u32_u24_e32 v58, 0x436, v58
	s_wait_loadcnt 0x4
	v_mul_f64_e32 v[102:103], v[48:49], v[161:162]
	v_mul_f64_e32 v[104:105], v[46:47], v[161:162]
	s_wait_loadcnt 0x2
	v_mul_f64_e32 v[106:107], v[52:53], v[165:166]
	v_mul_f64_e32 v[108:109], v[50:51], v[165:166]
	;; [unrolled: 3-line block ×3, first 2 shown]
	v_fma_f64 v[22:23], v[22:23], v[131:132], v[78:79]
	v_fma_f64 v[24:25], v[24:25], v[131:132], -v[80:81]
	v_fma_f64 v[18:19], v[18:19], v[135:136], v[74:75]
	v_fma_f64 v[20:21], v[20:21], v[135:136], -v[76:77]
	v_lshlrev_b32_e32 v203, 4, v58
	v_fma_f64 v[26:27], v[26:27], v[139:140], v[82:83]
	v_fma_f64 v[28:29], v[28:29], v[139:140], -v[84:85]
	s_clause 0x1
	scratch_store_b128 off, v[163:166], off offset:272
	scratch_store_b128 off, v[167:170], off offset:288
	v_add_nc_u32_e32 v188, v17, v203
	v_fma_f64 v[30:31], v[30:31], v[143:144], v[86:87]
	v_fma_f64 v[32:33], v[32:33], v[143:144], -v[88:89]
                                        ; implicit-def: $vgpr76_vgpr77
                                        ; implicit-def: $vgpr84_vgpr85
                                        ; implicit-def: $vgpr136_vgpr137
                                        ; implicit-def: $vgpr140_vgpr141
	v_fma_f64 v[34:35], v[34:35], v[151:152], v[90:91]
	v_fma_f64 v[36:37], v[36:37], v[151:152], -v[92:93]
                                        ; implicit-def: $vgpr92_vgpr93
	v_fma_f64 v[38:39], v[38:39], v[147:148], v[94:95]
	v_fma_f64 v[40:41], v[40:41], v[147:148], -v[96:97]
	v_fma_f64 v[42:43], v[42:43], v[155:156], v[98:99]
	v_fma_f64 v[44:45], v[44:45], v[155:156], -v[100:101]
	;; [unrolled: 2-line block ×5, first 2 shown]
	ds_store_b128 v188, v[0:3]
	ds_store_b128 v188, v[8:11] offset:1232
	ds_store_b128 v188, v[12:15] offset:9856
	;; [unrolled: 1-line block ×13, first 2 shown]
	global_wb scope:SCOPE_SE
	s_wait_storecnt_dscnt 0x0
	s_wait_kmcnt 0x0
	s_barrier_signal -1
	s_barrier_wait -1
	global_inv scope:SCOPE_SE
	ds_load_b128 v[0:3], v188 offset:8624
	ds_load_b128 v[8:11], v188
	ds_load_b128 v[12:15], v188 offset:1232
	ds_load_b128 v[4:7], v188 offset:9856
	;; [unrolled: 1-line block ×12, first 2 shown]
	global_wb scope:SCOPE_SE
	s_wait_dscnt 0x0
	s_barrier_signal -1
	s_barrier_wait -1
	global_inv scope:SCOPE_SE
	v_add_f64_e64 v[58:59], v[8:9], -v[0:1]
	v_add_f64_e64 v[60:61], v[10:11], -v[2:3]
	;; [unrolled: 1-line block ×14, first 2 shown]
	v_lshlrev_b16 v30, 1, v16
	s_delay_alu instid0(VALU_DEP_1)
	v_and_b32_e32 v30, 0xffff, v30
	v_fma_f64 v[8:9], v[8:9], 2.0, -v[58:59]
	v_fma_f64 v[10:11], v[10:11], 2.0, -v[60:61]
	v_fma_f64 v[46:47], v[12:13], 2.0, -v[62:63]
	v_fma_f64 v[48:49], v[14:15], 2.0, -v[64:65]
	v_fma_f64 v[22:23], v[22:23], 2.0, -v[18:19]
	v_fma_f64 v[24:25], v[24:25], 2.0, -v[20:21]
	v_fma_f64 v[26:27], v[26:27], 2.0, -v[66:67]
	v_fma_f64 v[28:29], v[28:29], 2.0, -v[68:69]
	v_fma_f64 v[35:36], v[38:39], 2.0, -v[31:32]
	v_fma_f64 v[37:38], v[40:41], 2.0, -v[33:34]
	v_fma_f64 v[39:40], v[42:43], 2.0, -v[0:1]
	v_fma_f64 v[41:42], v[44:45], 2.0, -v[2:3]
	v_fma_f64 v[12:13], v[50:51], 2.0, -v[4:5]
	v_fma_f64 v[14:15], v[52:53], 2.0, -v[6:7]
	v_add_co_ci_u32_e64 v43, null, 0, 0, s2
	v_lshl_add_u32 v44, v30, 4, v203
	v_lshl_add_u32 v43, v187, 5, v203
	;; [unrolled: 1-line block ×3, first 2 shown]
	v_add_co_u32 v17, s2, s8, v17
	scratch_store_b32 off, v44, off offset:308 ; 4-byte Folded Spill
	ds_store_b128 v44, v[8:11]
	ds_store_b128 v44, v[58:61] offset:16
	ds_store_b128 v43, v[46:49]
	scratch_store_b32 off, v43, off offset:304 ; 4-byte Folded Spill
	ds_store_b128 v43, v[62:65] offset:16
	ds_store_b128 v30, v[22:25] offset:4928
	;; [unrolled: 1-line block ×11, first 2 shown]
	global_wb scope:SCOPE_SE
	s_wait_storecnt_dscnt 0x0
	s_barrier_signal -1
	s_barrier_wait -1
	global_inv scope:SCOPE_SE
	ds_load_b128 v[8:11], v188
	ds_load_b128 v[116:119], v188 offset:1568
	ds_load_b128 v[112:115], v188 offset:3136
	;; [unrolled: 1-line block ×10, first 2 shown]
	s_wait_alu 0xf1ff
	v_add_co_ci_u32_e64 v18, null, s9, 0, s2
                                        ; implicit-def: $vgpr68_vgpr69
                                        ; implicit-def: $vgpr20_vgpr21
	scratch_store_b64 off, v[17:18], off offset:332 ; 8-byte Folded Spill
                                        ; implicit-def: $vgpr16_vgpr17
	s_and_saveexec_b32 s2, vcc_lo
	s_cbranch_execz .LBB0_3
; %bb.2:
	ds_load_b128 v[0:3], v188 offset:1232
	ds_load_b128 v[12:15], v188 offset:2800
	;; [unrolled: 1-line block ×11, first 2 shown]
.LBB0_3:
	s_wait_alu 0xfffe
	s_or_b32 exec_lo, exec_lo, s2
	v_add_nc_u32_e32 v28, 0x1340, v30
	v_and_b32_e32 v191, 1, v202
	s_mov_b32 s24, 0xf8bb580b
	s_mov_b32 s36, 0x8eee2c13
	s_mov_b32 s20, 0x43842ef
	scratch_store_b32 off, v28, off offset:328 ; 4-byte Folded Spill
	v_add_nc_u32_e32 v28, 0x1ce0, v30
	s_mov_b32 s22, 0xbb3a28a1
	s_mov_b32 s26, 0xfd768dbf
	s_mov_b32 s25, 0xbfe14ced
	s_mov_b32 s37, 0xbfed1bb4
	scratch_store_b32 off, v28, off offset:324 ; 4-byte Folded Spill
	v_add_nc_u32_e32 v28, 0x2680, v30
	s_mov_b32 s21, 0xbfefac9e
	s_mov_b32 s23, 0xbfe82f19
	s_mov_b32 s27, 0xbfd207e7
	s_mov_b32 s2, 0x8764f0ba
	scratch_store_b32 off, v28, off offset:320 ; 4-byte Folded Spill
	v_add_nc_u32_e32 v28, 0x3020, v30
	s_mov_b32 s12, 0xd9c712b6
	s_mov_b32 s14, 0x640f44db
	s_mov_b32 s16, 0x7f775887
	s_mov_b32 s18, 0x9bcd5057
	scratch_store_b32 off, v28, off offset:316 ; 4-byte Folded Spill
	v_add_nc_u32_e32 v28, 0x39c0, v30
	s_mov_b32 s3, 0x3feaeb8c
	s_mov_b32 s13, 0x3fda9628
	s_mov_b32 s15, 0xbfc2375f
	;; [unrolled: 1-line block ×3, first 2 shown]
	scratch_store_b32 off, v28, off offset:312 ; 4-byte Folded Spill
	v_mul_u32_u24_e32 v28, 10, v191
	s_mov_b32 s19, 0xbfeeb42a
	s_mov_b32 s39, 0x3fd207e7
	;; [unrolled: 1-line block ×4, first 2 shown]
	v_lshlrev_b32_e32 v28, 4, v28
	s_clause 0x3
	global_load_b128 v[100:103], v28, s[10:11] offset:48
	global_load_b128 v[104:107], v28, s[10:11] offset:32
	;; [unrolled: 1-line block ×3, first 2 shown]
	global_load_b128 v[120:123], v28, s[10:11]
	s_mov_b32 s34, s20
	s_mov_b32 s29, 0x3fe14ced
	;; [unrolled: 1-line block ×5, first 2 shown]
	s_wait_loadcnt_dscnt 0x9
	v_mul_f64_e32 v[30:31], v[118:119], v[122:123]
	s_delay_alu instid0(VALU_DEP_1) | instskip(SKIP_1) | instid1(VALU_DEP_1)
	v_fma_f64 v[172:173], v[116:117], v[120:121], -v[30:31]
	v_mul_f64_e32 v[30:31], v[116:117], v[122:123]
	v_fma_f64 v[174:175], v[118:119], v[120:121], v[30:31]
	s_wait_dscnt 0x8
	v_mul_f64_e32 v[30:31], v[114:115], v[110:111]
	s_delay_alu instid0(VALU_DEP_1) | instskip(SKIP_1) | instid1(VALU_DEP_1)
	v_fma_f64 v[166:167], v[112:113], v[108:109], -v[30:31]
	v_mul_f64_e32 v[30:31], v[112:113], v[110:111]
	v_fma_f64 v[164:165], v[114:115], v[108:109], v[30:31]
	s_clause 0x3
	global_load_b128 v[112:115], v28, s[10:11] offset:112
	global_load_b128 v[116:119], v28, s[10:11] offset:96
	;; [unrolled: 1-line block ×4, first 2 shown]
	s_wait_dscnt 0x7
	v_mul_f64_e32 v[30:31], v[98:99], v[106:107]
	s_delay_alu instid0(VALU_DEP_1) | instskip(SKIP_1) | instid1(VALU_DEP_1)
	v_fma_f64 v[160:161], v[96:97], v[104:105], -v[30:31]
	v_mul_f64_e32 v[30:31], v[96:97], v[106:107]
	v_fma_f64 v[158:159], v[98:99], v[104:105], v[30:31]
	s_wait_dscnt 0x6
	v_mul_f64_e32 v[30:31], v[90:91], v[102:103]
	s_clause 0x1
	global_load_b128 v[96:99], v28, s[10:11] offset:144
	global_load_b128 v[132:135], v28, s[10:11] offset:128
	v_fma_f64 v[154:155], v[88:89], v[100:101], -v[30:31]
	v_mul_f64_e32 v[30:31], v[88:89], v[102:103]
	s_delay_alu instid0(VALU_DEP_1) | instskip(SKIP_2) | instid1(VALU_DEP_1)
	v_fma_f64 v[152:153], v[90:91], v[100:101], v[30:31]
	s_wait_loadcnt_dscnt 0x205
	v_mul_f64_e32 v[30:31], v[82:83], v[130:131]
	v_fma_f64 v[148:149], v[80:81], v[128:129], -v[30:31]
	v_mul_f64_e32 v[30:31], v[80:81], v[130:131]
	s_delay_alu instid0(VALU_DEP_1) | instskip(SKIP_2) | instid1(VALU_DEP_1)
	v_fma_f64 v[144:145], v[82:83], v[128:129], v[30:31]
	s_wait_dscnt 0x4
	v_mul_f64_e32 v[30:31], v[74:75], v[126:127]
	v_fma_f64 v[150:151], v[72:73], v[124:125], -v[30:31]
	v_mul_f64_e32 v[30:31], v[72:73], v[126:127]
	s_delay_alu instid0(VALU_DEP_1) | instskip(SKIP_2) | instid1(VALU_DEP_1)
	v_fma_f64 v[146:147], v[74:75], v[124:125], v[30:31]
	s_wait_dscnt 0x3
	;; [unrolled: 6-line block ×3, first 2 shown]
	v_mul_f64_e32 v[30:31], v[26:27], v[114:115]
	v_fma_f64 v[162:163], v[24:25], v[112:113], -v[30:31]
	v_mul_f64_e32 v[24:25], v[24:25], v[114:115]
	s_delay_alu instid0(VALU_DEP_1) | instskip(SKIP_2) | instid1(VALU_DEP_1)
	v_fma_f64 v[66:67], v[26:27], v[112:113], v[24:25]
	s_wait_loadcnt_dscnt 0x1
	v_mul_f64_e32 v[24:25], v[62:63], v[134:135]
	v_fma_f64 v[170:171], v[60:61], v[132:133], -v[24:25]
	v_mul_f64_e32 v[24:25], v[60:61], v[134:135]
	s_delay_alu instid0(VALU_DEP_1) | instskip(SKIP_2) | instid1(VALU_DEP_1)
	v_fma_f64 v[168:169], v[62:63], v[132:133], v[24:25]
	s_wait_dscnt 0x0
	v_mul_f64_e32 v[24:25], v[58:59], v[98:99]
	v_fma_f64 v[72:73], v[56:57], v[96:97], -v[24:25]
	v_mul_f64_e32 v[24:25], v[56:57], v[98:99]
	s_delay_alu instid0(VALU_DEP_1) | instskip(SKIP_3) | instid1(VALU_DEP_1)
	v_fma_f64 v[74:75], v[58:59], v[96:97], v[24:25]
	v_and_b32_e32 v24, 1, v187
	scratch_store_b32 off, v24, off offset:340 ; 4-byte Folded Spill
	v_mul_u32_u24_e32 v24, 10, v24
	v_lshlrev_b32_e32 v28, 4, v24
	s_clause 0x3
	global_load_b128 v[37:40], v28, s[10:11] offset:48
	global_load_b128 v[33:36], v28, s[10:11] offset:32
	;; [unrolled: 1-line block ×3, first 2 shown]
	global_load_b128 v[41:44], v28, s[10:11]
	s_wait_loadcnt 0x3
	scratch_store_b128 off, v[37:40], off offset:376 ; 16-byte Folded Spill
	s_wait_loadcnt 0x2
	scratch_store_b128 off, v[33:36], off offset:360 ; 16-byte Folded Spill
	;; [unrolled: 2-line block ×3, first 2 shown]
	s_wait_loadcnt 0x0
	v_mul_f64_e32 v[24:25], v[14:15], v[43:44]
	scratch_store_b128 off, v[41:44], off offset:408 ; 16-byte Folded Spill
	v_fma_f64 v[54:55], v[12:13], v[41:42], -v[24:25]
	v_mul_f64_e32 v[12:13], v[12:13], v[43:44]
	s_delay_alu instid0(VALU_DEP_1) | instskip(SKIP_1) | instid1(VALU_DEP_1)
	v_fma_f64 v[56:57], v[14:15], v[41:42], v[12:13]
	v_mul_f64_e32 v[12:13], v[6:7], v[31:32]
	v_fma_f64 v[24:25], v[4:5], v[29:30], -v[12:13]
	v_mul_f64_e32 v[4:5], v[4:5], v[31:32]
	s_delay_alu instid0(VALU_DEP_1) | instskip(SKIP_2) | instid1(VALU_DEP_2)
	v_fma_f64 v[26:27], v[6:7], v[29:30], v[4:5]
	v_mul_f64_e32 v[4:5], v[70:71], v[35:36]
	v_add_f64_e32 v[6:7], v[10:11], v[174:175]
	v_fma_f64 v[30:31], v[68:69], v[33:34], -v[4:5]
	v_mul_f64_e32 v[4:5], v[68:69], v[35:36]
	s_delay_alu instid0(VALU_DEP_3) | instskip(NEXT) | instid1(VALU_DEP_2)
	v_add_f64_e32 v[6:7], v[6:7], v[164:165]
	v_fma_f64 v[32:33], v[70:71], v[33:34], v[4:5]
	v_mul_f64_e32 v[4:5], v[78:79], v[39:40]
	s_delay_alu instid0(VALU_DEP_3) | instskip(NEXT) | instid1(VALU_DEP_2)
	v_add_f64_e32 v[6:7], v[6:7], v[158:159]
	v_fma_f64 v[34:35], v[76:77], v[37:38], -v[4:5]
	v_mul_f64_e32 v[4:5], v[76:77], v[39:40]
	s_clause 0x3
	global_load_b128 v[12:15], v28, s[10:11] offset:112
	global_load_b128 v[48:51], v28, s[10:11] offset:96
	;; [unrolled: 1-line block ×4, first 2 shown]
	v_add_f64_e32 v[6:7], v[6:7], v[152:153]
	v_fma_f64 v[36:37], v[78:79], v[37:38], v[4:5]
	s_delay_alu instid0(VALU_DEP_2) | instskip(NEXT) | instid1(VALU_DEP_1)
	v_add_f64_e32 v[6:7], v[6:7], v[144:145]
	v_add_f64_e32 v[6:7], v[6:7], v[146:147]
	s_delay_alu instid0(VALU_DEP_1) | instskip(NEXT) | instid1(VALU_DEP_1)
	v_add_f64_e32 v[6:7], v[6:7], v[64:65]
	v_add_f64_e32 v[6:7], v[6:7], v[66:67]
	s_delay_alu instid0(VALU_DEP_1) | instskip(NEXT) | instid1(VALU_DEP_1)
	v_add_f64_e32 v[6:7], v[6:7], v[168:169]
	v_add_f64_e32 v[6:7], v[6:7], v[74:75]
	s_wait_loadcnt 0x3
	scratch_store_b128 off, v[12:15], off offset:392 ; 16-byte Folded Spill
	s_wait_loadcnt 0x2
	scratch_store_b128 off, v[48:51], off offset:424 ; 16-byte Folded Spill
	;; [unrolled: 2-line block ×3, first 2 shown]
	s_wait_loadcnt 0x0
	v_mul_f64_e32 v[4:5], v[86:87], v[42:43]
	scratch_store_b128 off, v[40:43], off offset:472 ; 16-byte Folded Spill
	v_fma_f64 v[38:39], v[84:85], v[40:41], -v[4:5]
	v_mul_f64_e32 v[4:5], v[84:85], v[42:43]
	s_delay_alu instid0(VALU_DEP_1) | instskip(SKIP_1) | instid1(VALU_DEP_1)
	v_fma_f64 v[40:41], v[86:87], v[40:41], v[4:5]
	v_mul_f64_e32 v[4:5], v[94:95], v[46:47]
	v_fma_f64 v[42:43], v[92:93], v[44:45], -v[4:5]
	v_mul_f64_e32 v[4:5], v[92:93], v[46:47]
	s_delay_alu instid0(VALU_DEP_2) | instskip(NEXT) | instid1(VALU_DEP_2)
	v_add_f64_e32 v[236:237], v[38:39], v[42:43]
	v_fma_f64 v[44:45], v[94:95], v[44:45], v[4:5]
	v_mul_f64_e32 v[4:5], v[138:139], v[50:51]
	v_add_f64_e64 v[210:211], v[38:39], -v[42:43]
	s_delay_alu instid0(VALU_DEP_3) | instskip(NEXT) | instid1(VALU_DEP_3)
	v_add_f64_e64 v[208:209], v[40:41], -v[44:45]
	v_fma_f64 v[46:47], v[136:137], v[48:49], -v[4:5]
	v_mul_f64_e32 v[4:5], v[136:137], v[50:51]
	v_add_f64_e32 v[238:239], v[40:41], v[44:45]
	v_mul_f64_e32 v[246:247], s[26:27], v[210:211]
	v_mul_f64_e32 v[250:251], s[28:29], v[210:211]
	;; [unrolled: 1-line block ×3, first 2 shown]
	v_add_f64_e32 v[220:221], v[34:35], v[46:47]
	v_fma_f64 v[48:49], v[138:139], v[48:49], v[4:5]
	v_mul_f64_e32 v[4:5], v[142:143], v[14:15]
	v_mul_f64_e32 v[248:249], s[28:29], v[208:209]
	s_delay_alu instid0(VALU_DEP_3) | instskip(NEXT) | instid1(VALU_DEP_3)
	v_add_f64_e32 v[222:223], v[36:37], v[48:49]
	v_fma_f64 v[50:51], v[140:141], v[12:13], -v[4:5]
	v_mul_f64_e32 v[4:5], v[140:141], v[14:15]
	s_delay_alu instid0(VALU_DEP_1) | instskip(SKIP_4) | instid1(VALU_DEP_1)
	v_fma_f64 v[52:53], v[142:143], v[12:13], v[4:5]
	s_clause 0x1
	global_load_b128 v[12:15], v28, s[10:11] offset:144
	global_load_b128 v[60:63], v28, s[10:11] offset:128
	v_lshrrev_b32_e32 v28, 1, v202
	v_mul_u32_u24_e32 v28, 22, v28
	s_delay_alu instid0(VALU_DEP_1) | instskip(NEXT) | instid1(VALU_DEP_1)
	v_or_b32_e32 v28, v28, v191
	v_lshl_add_u32 v191, v28, 4, v203
	s_wait_loadcnt 0x1
	scratch_store_b128 off, v[12:15], off offset:456 ; 16-byte Folded Spill
	s_wait_loadcnt 0x0
	v_mul_f64_e32 v[4:5], v[18:19], v[62:63]
	scratch_store_b128 off, v[60:63], off offset:488 ; 16-byte Folded Spill
	v_fma_f64 v[58:59], v[16:17], v[60:61], -v[4:5]
	v_mul_f64_e32 v[4:5], v[16:17], v[62:63]
	v_add_f64_e64 v[16:17], v[172:173], -v[72:73]
	s_delay_alu instid0(VALU_DEP_3) | instskip(NEXT) | instid1(VALU_DEP_3)
	v_add_f64_e64 v[183:184], v[24:25], -v[58:59]
	v_fma_f64 v[60:61], v[18:19], v[60:61], v[4:5]
	v_mul_f64_e32 v[4:5], v[22:23], v[14:15]
	v_add_f64_e64 v[18:19], v[174:175], -v[74:75]
	v_mul_f64_e32 v[70:71], s[24:25], v[16:17]
	v_mul_f64_e32 v[78:79], s[36:37], v[16:17]
	;; [unrolled: 1-line block ×6, first 2 shown]
	v_add_f64_e64 v[185:186], v[26:27], -v[60:61]
	v_fma_f64 v[62:63], v[20:21], v[12:13], -v[4:5]
	v_mul_f64_e32 v[4:5], v[20:21], v[14:15]
	v_add_f64_e32 v[14:15], v[174:175], v[74:75]
	v_mul_f64_e32 v[74:75], s[36:37], v[18:19]
	v_mul_f64_e32 v[82:83], s[20:21], v[18:19]
	;; [unrolled: 1-line block ×6, first 2 shown]
	v_fma_f64 v[20:21], v[22:23], v[12:13], v[4:5]
	v_add_f64_e32 v[4:5], v[8:9], v[172:173]
	v_add_f64_e32 v[12:13], v[172:173], v[72:73]
	v_mul_f64_e32 v[22:23], s[24:25], v[18:19]
	v_mul_f64_e32 v[18:19], s[26:27], v[18:19]
	s_wait_alu 0xfffe
	v_fma_f64 v[80:81], v[14:15], s[12:13], v[78:79]
	v_fma_f64 v[78:79], v[14:15], s[12:13], -v[78:79]
	v_fma_f64 v[88:89], v[14:15], s[14:15], v[86:87]
	v_fma_f64 v[86:87], v[14:15], s[14:15], -v[86:87]
	;; [unrolled: 2-line block ×3, first 2 shown]
	v_fma_f64 v[140:141], v[14:15], s[18:19], v[16:17]
	v_add_f64_e32 v[4:5], v[4:5], v[166:167]
	v_fma_f64 v[76:77], v[12:13], s[12:13], -v[74:75]
	v_fma_f64 v[68:69], v[12:13], s[2:3], -v[22:23]
	v_fma_f64 v[22:23], v[12:13], s[2:3], v[22:23]
	v_fma_f64 v[74:75], v[12:13], s[12:13], v[74:75]
	v_fma_f64 v[84:85], v[12:13], s[14:15], -v[82:83]
	v_fma_f64 v[82:83], v[12:13], s[14:15], v[82:83]
	v_fma_f64 v[92:93], v[12:13], s[16:17], -v[90:91]
	;; [unrolled: 2-line block ×3, first 2 shown]
	v_fma_f64 v[12:13], v[12:13], s[18:19], v[18:19]
	v_add_f64_e64 v[18:19], v[164:165], -v[168:169]
	v_add_f64_e32 v[80:81], v[10:11], v[80:81]
	v_add_f64_e32 v[78:79], v[10:11], v[78:79]
	;; [unrolled: 1-line block ×18, first 2 shown]
	v_fma_f64 v[12:13], v[14:15], s[18:19], -v[16:17]
	v_mul_f64_e32 v[142:143], s[36:37], v[18:19]
	v_add_f64_e64 v[16:17], v[166:167], -v[170:171]
	v_add_f64_e32 v[4:5], v[4:5], v[154:155]
	s_delay_alu instid0(VALU_DEP_1) | instskip(NEXT) | instid1(VALU_DEP_1)
	v_add_f64_e32 v[4:5], v[4:5], v[148:149]
	v_add_f64_e32 v[4:5], v[4:5], v[150:151]
	s_delay_alu instid0(VALU_DEP_1) | instskip(NEXT) | instid1(VALU_DEP_1)
	v_add_f64_e32 v[4:5], v[4:5], v[156:157]
	;; [unrolled: 3-line block ×3, first 2 shown]
	v_add_f64_e32 v[4:5], v[4:5], v[72:73]
	v_fma_f64 v[72:73], v[14:15], s[2:3], v[70:71]
	v_fma_f64 v[70:71], v[14:15], s[2:3], -v[70:71]
	v_add_f64_e32 v[14:15], v[164:165], v[168:169]
	v_add_f64_e32 v[168:169], v[26:27], v[60:61]
	s_delay_alu instid0(VALU_DEP_4) | instskip(NEXT) | instid1(VALU_DEP_4)
	v_add_f64_e32 v[72:73], v[10:11], v[72:73]
	v_add_f64_e32 v[70:71], v[10:11], v[70:71]
	;; [unrolled: 1-line block ×4, first 2 shown]
	s_delay_alu instid0(VALU_DEP_1) | instskip(SKIP_1) | instid1(VALU_DEP_2)
	v_fma_f64 v[164:165], v[12:13], s[12:13], -v[142:143]
	v_fma_f64 v[142:143], v[12:13], s[12:13], v[142:143]
	v_add_f64_e32 v[68:69], v[164:165], v[68:69]
	v_mul_f64_e32 v[164:165], s[36:37], v[16:17]
	s_delay_alu instid0(VALU_DEP_3) | instskip(NEXT) | instid1(VALU_DEP_2)
	v_add_f64_e32 v[22:23], v[142:143], v[22:23]
	v_fma_f64 v[142:143], v[14:15], s[12:13], -v[164:165]
	v_fma_f64 v[166:167], v[14:15], s[12:13], v[164:165]
	s_delay_alu instid0(VALU_DEP_2) | instskip(SKIP_1) | instid1(VALU_DEP_3)
	v_add_f64_e32 v[70:71], v[142:143], v[70:71]
	v_mul_f64_e32 v[142:143], s[22:23], v[18:19]
	v_add_f64_e32 v[72:73], v[166:167], v[72:73]
	s_delay_alu instid0(VALU_DEP_2) | instskip(SKIP_1) | instid1(VALU_DEP_2)
	v_fma_f64 v[164:165], v[12:13], s[16:17], -v[142:143]
	v_fma_f64 v[142:143], v[12:13], s[16:17], v[142:143]
	v_add_f64_e32 v[76:77], v[164:165], v[76:77]
	v_mul_f64_e32 v[164:165], s[22:23], v[16:17]
	s_delay_alu instid0(VALU_DEP_3) | instskip(NEXT) | instid1(VALU_DEP_2)
	v_add_f64_e32 v[74:75], v[142:143], v[74:75]
	v_fma_f64 v[142:143], v[14:15], s[16:17], -v[164:165]
	v_fma_f64 v[166:167], v[14:15], s[16:17], v[164:165]
	s_delay_alu instid0(VALU_DEP_2) | instskip(SKIP_1) | instid1(VALU_DEP_3)
	v_add_f64_e32 v[78:79], v[142:143], v[78:79]
	v_mul_f64_e32 v[142:143], s[38:39], v[18:19]
	v_add_f64_e32 v[80:81], v[166:167], v[80:81]
	s_delay_alu instid0(VALU_DEP_2) | instskip(SKIP_1) | instid1(VALU_DEP_2)
	v_fma_f64 v[164:165], v[12:13], s[18:19], -v[142:143]
	v_fma_f64 v[142:143], v[12:13], s[18:19], v[142:143]
	v_add_f64_e32 v[84:85], v[164:165], v[84:85]
	v_mul_f64_e32 v[164:165], s[38:39], v[16:17]
	s_delay_alu instid0(VALU_DEP_3) | instskip(NEXT) | instid1(VALU_DEP_2)
	v_add_f64_e32 v[82:83], v[142:143], v[82:83]
	v_fma_f64 v[142:143], v[14:15], s[18:19], -v[164:165]
	v_fma_f64 v[166:167], v[14:15], s[18:19], v[164:165]
	s_delay_alu instid0(VALU_DEP_2) | instskip(SKIP_2) | instid1(VALU_DEP_4)
	v_add_f64_e32 v[86:87], v[142:143], v[86:87]
	v_mul_f64_e32 v[142:143], s[34:35], v[18:19]
	v_mul_f64_e32 v[18:19], s[28:29], v[18:19]
	v_add_f64_e32 v[88:89], v[166:167], v[88:89]
	s_delay_alu instid0(VALU_DEP_3) | instskip(SKIP_1) | instid1(VALU_DEP_2)
	v_fma_f64 v[164:165], v[12:13], s[14:15], -v[142:143]
	v_fma_f64 v[142:143], v[12:13], s[14:15], v[142:143]
	v_add_f64_e32 v[92:93], v[164:165], v[92:93]
	v_mul_f64_e32 v[164:165], s[34:35], v[16:17]
	s_delay_alu instid0(VALU_DEP_3) | instskip(SKIP_1) | instid1(VALU_DEP_3)
	v_add_f64_e32 v[90:91], v[142:143], v[90:91]
	v_mul_f64_e32 v[16:17], s[28:29], v[16:17]
	v_fma_f64 v[142:143], v[14:15], s[14:15], -v[164:165]
	v_fma_f64 v[166:167], v[14:15], s[14:15], v[164:165]
	v_add_f64_e32 v[164:165], v[56:57], v[20:21]
	s_delay_alu instid0(VALU_DEP_3)
	v_add_f64_e32 v[94:95], v[142:143], v[94:95]
	v_fma_f64 v[142:143], v[12:13], s[2:3], -v[18:19]
	v_fma_f64 v[12:13], v[12:13], s[2:3], v[18:19]
	v_add_f64_e64 v[18:19], v[158:159], -v[66:67]
	v_add_f64_e32 v[136:137], v[166:167], v[136:137]
	v_add_f64_e32 v[166:167], v[24:25], v[58:59]
	;; [unrolled: 1-line block ×4, first 2 shown]
	v_fma_f64 v[12:13], v[14:15], s[2:3], -v[16:17]
	v_fma_f64 v[142:143], v[14:15], s[2:3], v[16:17]
	v_add_f64_e32 v[14:15], v[158:159], v[66:67]
	v_mul_f64_e32 v[66:67], s[20:21], v[18:19]
	v_add_f64_e64 v[16:17], v[160:161], -v[162:163]
	v_fma_f64 v[192:193], v[166:167], s[12:13], v[178:179]
	v_add_f64_e32 v[10:11], v[12:13], v[10:11]
	v_add_f64_e32 v[12:13], v[160:161], v[162:163]
	;; [unrolled: 1-line block ×4, first 2 shown]
	v_add_f64_e64 v[162:163], v[148:149], -v[150:151]
	s_delay_alu instid0(VALU_DEP_4) | instskip(SKIP_1) | instid1(VALU_DEP_2)
	v_fma_f64 v[142:143], v[12:13], s[14:15], -v[66:67]
	v_fma_f64 v[66:67], v[12:13], s[14:15], v[66:67]
	v_add_f64_e32 v[68:69], v[142:143], v[68:69]
	v_mul_f64_e32 v[142:143], s[20:21], v[16:17]
	s_delay_alu instid0(VALU_DEP_3) | instskip(NEXT) | instid1(VALU_DEP_2)
	v_add_f64_e32 v[22:23], v[66:67], v[22:23]
	v_fma_f64 v[66:67], v[14:15], s[14:15], -v[142:143]
	v_fma_f64 v[158:159], v[14:15], s[14:15], v[142:143]
	s_delay_alu instid0(VALU_DEP_2) | instskip(SKIP_1) | instid1(VALU_DEP_3)
	v_add_f64_e32 v[66:67], v[66:67], v[70:71]
	v_mul_f64_e32 v[70:71], s[38:39], v[18:19]
	v_add_f64_e32 v[72:73], v[158:159], v[72:73]
	s_delay_alu instid0(VALU_DEP_2) | instskip(SKIP_1) | instid1(VALU_DEP_2)
	v_fma_f64 v[142:143], v[12:13], s[18:19], -v[70:71]
	v_fma_f64 v[70:71], v[12:13], s[18:19], v[70:71]
	v_add_f64_e32 v[76:77], v[142:143], v[76:77]
	v_mul_f64_e32 v[142:143], s[38:39], v[16:17]
	s_delay_alu instid0(VALU_DEP_3) | instskip(NEXT) | instid1(VALU_DEP_2)
	v_add_f64_e32 v[70:71], v[70:71], v[74:75]
	v_fma_f64 v[74:75], v[14:15], s[18:19], -v[142:143]
	v_fma_f64 v[158:159], v[14:15], s[18:19], v[142:143]
	s_delay_alu instid0(VALU_DEP_2) | instskip(SKIP_1) | instid1(VALU_DEP_3)
	v_add_f64_e32 v[74:75], v[74:75], v[78:79]
	v_mul_f64_e32 v[78:79], s[30:31], v[18:19]
	v_add_f64_e32 v[80:81], v[158:159], v[80:81]
	s_delay_alu instid0(VALU_DEP_2) | instskip(SKIP_1) | instid1(VALU_DEP_2)
	v_fma_f64 v[142:143], v[12:13], s[12:13], -v[78:79]
	v_fma_f64 v[78:79], v[12:13], s[12:13], v[78:79]
	v_add_f64_e32 v[84:85], v[142:143], v[84:85]
	v_mul_f64_e32 v[142:143], s[30:31], v[16:17]
	s_delay_alu instid0(VALU_DEP_3) | instskip(NEXT) | instid1(VALU_DEP_2)
	v_add_f64_e32 v[78:79], v[78:79], v[82:83]
	v_fma_f64 v[82:83], v[14:15], s[12:13], -v[142:143]
	v_fma_f64 v[158:159], v[14:15], s[12:13], v[142:143]
	s_delay_alu instid0(VALU_DEP_2) | instskip(SKIP_2) | instid1(VALU_DEP_4)
	v_add_f64_e32 v[82:83], v[82:83], v[86:87]
	v_mul_f64_e32 v[86:87], s[24:25], v[18:19]
	v_mul_f64_e32 v[18:19], s[22:23], v[18:19]
	v_add_f64_e32 v[88:89], v[158:159], v[88:89]
	s_delay_alu instid0(VALU_DEP_3) | instskip(SKIP_1) | instid1(VALU_DEP_2)
	v_fma_f64 v[142:143], v[12:13], s[2:3], -v[86:87]
	v_fma_f64 v[86:87], v[12:13], s[2:3], v[86:87]
	v_add_f64_e32 v[92:93], v[142:143], v[92:93]
	v_mul_f64_e32 v[142:143], s[24:25], v[16:17]
	s_delay_alu instid0(VALU_DEP_3) | instskip(SKIP_1) | instid1(VALU_DEP_3)
	v_add_f64_e32 v[86:87], v[86:87], v[90:91]
	v_mul_f64_e32 v[16:17], s[22:23], v[16:17]
	v_fma_f64 v[90:91], v[14:15], s[2:3], -v[142:143]
	v_fma_f64 v[158:159], v[14:15], s[2:3], v[142:143]
	s_delay_alu instid0(VALU_DEP_2) | instskip(SKIP_4) | instid1(VALU_DEP_4)
	v_add_f64_e32 v[90:91], v[90:91], v[94:95]
	v_fma_f64 v[94:95], v[12:13], s[16:17], -v[18:19]
	v_fma_f64 v[12:13], v[12:13], s[16:17], v[18:19]
	v_add_f64_e64 v[18:19], v[152:153], -v[64:65]
	v_add_f64_e32 v[136:137], v[158:159], v[136:137]
	v_add_f64_e32 v[94:95], v[94:95], v[138:139]
	s_delay_alu instid0(VALU_DEP_4)
	v_add_f64_e32 v[8:9], v[12:13], v[8:9]
	v_fma_f64 v[12:13], v[14:15], s[16:17], -v[16:17]
	v_fma_f64 v[138:139], v[14:15], s[16:17], v[16:17]
	v_add_f64_e32 v[14:15], v[152:153], v[64:65]
	v_mul_f64_e32 v[64:65], s[22:23], v[18:19]
	v_add_f64_e64 v[16:17], v[154:155], -v[156:157]
	v_add_f64_e32 v[10:11], v[12:13], v[10:11]
	v_add_f64_e32 v[12:13], v[154:155], v[156:157]
	;; [unrolled: 1-line block ×3, first 2 shown]
	v_add_f64_e64 v[156:157], v[144:145], -v[146:147]
	s_delay_alu instid0(VALU_DEP_3) | instskip(SKIP_1) | instid1(VALU_DEP_2)
	v_fma_f64 v[140:141], v[12:13], s[16:17], -v[64:65]
	v_fma_f64 v[64:65], v[12:13], s[16:17], v[64:65]
	v_add_f64_e32 v[68:69], v[140:141], v[68:69]
	v_mul_f64_e32 v[140:141], s[22:23], v[16:17]
	s_delay_alu instid0(VALU_DEP_1) | instskip(NEXT) | instid1(VALU_DEP_1)
	v_fma_f64 v[142:143], v[14:15], s[16:17], v[140:141]
	v_add_f64_e32 v[72:73], v[142:143], v[72:73]
	v_add_f64_e32 v[142:143], v[64:65], v[22:23]
	v_fma_f64 v[22:23], v[14:15], s[16:17], -v[140:141]
	s_delay_alu instid0(VALU_DEP_1) | instskip(SKIP_1) | instid1(VALU_DEP_1)
	v_add_f64_e32 v[140:141], v[22:23], v[66:67]
	v_mul_f64_e32 v[22:23], s[34:35], v[18:19]
	v_fma_f64 v[64:65], v[12:13], s[14:15], -v[22:23]
	v_fma_f64 v[22:23], v[12:13], s[14:15], v[22:23]
	s_delay_alu instid0(VALU_DEP_2) | instskip(SKIP_1) | instid1(VALU_DEP_3)
	v_add_f64_e32 v[76:77], v[64:65], v[76:77]
	v_mul_f64_e32 v[64:65], s[34:35], v[16:17]
	v_add_f64_e32 v[70:71], v[22:23], v[70:71]
	s_delay_alu instid0(VALU_DEP_2) | instskip(SKIP_1) | instid1(VALU_DEP_2)
	v_fma_f64 v[22:23], v[14:15], s[14:15], -v[64:65]
	v_fma_f64 v[66:67], v[14:15], s[14:15], v[64:65]
	v_add_f64_e32 v[74:75], v[22:23], v[74:75]
	v_mul_f64_e32 v[22:23], s[24:25], v[18:19]
	s_delay_alu instid0(VALU_DEP_3) | instskip(NEXT) | instid1(VALU_DEP_2)
	v_add_f64_e32 v[80:81], v[66:67], v[80:81]
	v_fma_f64 v[64:65], v[12:13], s[2:3], -v[22:23]
	v_fma_f64 v[22:23], v[12:13], s[2:3], v[22:23]
	s_delay_alu instid0(VALU_DEP_2) | instskip(SKIP_1) | instid1(VALU_DEP_3)
	v_add_f64_e32 v[84:85], v[64:65], v[84:85]
	v_mul_f64_e32 v[64:65], s[24:25], v[16:17]
	v_add_f64_e32 v[78:79], v[22:23], v[78:79]
	s_delay_alu instid0(VALU_DEP_2) | instskip(SKIP_1) | instid1(VALU_DEP_2)
	v_fma_f64 v[22:23], v[14:15], s[2:3], -v[64:65]
	v_fma_f64 v[66:67], v[14:15], s[2:3], v[64:65]
	v_add_f64_e32 v[82:83], v[22:23], v[82:83]
	v_mul_f64_e32 v[22:23], s[26:27], v[18:19]
	v_mul_f64_e32 v[18:19], s[30:31], v[18:19]
	s_delay_alu instid0(VALU_DEP_4) | instskip(NEXT) | instid1(VALU_DEP_3)
	v_add_f64_e32 v[88:89], v[66:67], v[88:89]
	v_fma_f64 v[64:65], v[12:13], s[18:19], -v[22:23]
	v_fma_f64 v[22:23], v[12:13], s[18:19], v[22:23]
	s_delay_alu instid0(VALU_DEP_2) | instskip(SKIP_1) | instid1(VALU_DEP_3)
	v_add_f64_e32 v[92:93], v[64:65], v[92:93]
	v_mul_f64_e32 v[64:65], s[26:27], v[16:17]
	v_add_f64_e32 v[86:87], v[22:23], v[86:87]
	v_mul_f64_e32 v[16:17], s[30:31], v[16:17]
	s_delay_alu instid0(VALU_DEP_3) | instskip(SKIP_1) | instid1(VALU_DEP_2)
	v_fma_f64 v[22:23], v[14:15], s[18:19], -v[64:65]
	v_fma_f64 v[66:67], v[14:15], s[18:19], v[64:65]
	v_add_f64_e32 v[90:91], v[22:23], v[90:91]
	v_fma_f64 v[22:23], v[12:13], s[12:13], -v[18:19]
	v_fma_f64 v[12:13], v[12:13], s[12:13], v[18:19]
	s_delay_alu instid0(VALU_DEP_4) | instskip(SKIP_1) | instid1(VALU_DEP_4)
	v_add_f64_e32 v[152:153], v[66:67], v[136:137]
	v_add_f64_e32 v[66:67], v[144:145], v[146:147]
	;; [unrolled: 1-line block ×3, first 2 shown]
	v_fma_f64 v[22:23], v[14:15], s[12:13], v[16:17]
	v_add_f64_e32 v[64:65], v[12:13], v[8:9]
	v_fma_f64 v[8:9], v[14:15], s[12:13], -v[16:17]
	s_delay_alu instid0(VALU_DEP_3) | instskip(NEXT) | instid1(VALU_DEP_2)
	v_add_f64_e32 v[158:159], v[22:23], v[138:139]
	v_add_f64_e32 v[22:23], v[8:9], v[10:11]
	v_mul_f64_e32 v[8:9], s[26:27], v[156:157]
	s_delay_alu instid0(VALU_DEP_1) | instskip(SKIP_1) | instid1(VALU_DEP_2)
	v_fma_f64 v[10:11], v[160:161], s[18:19], -v[8:9]
	v_fma_f64 v[8:9], v[160:161], s[18:19], v[8:9]
	v_add_f64_e32 v[12:13], v[10:11], v[68:69]
	v_mul_f64_e32 v[10:11], s[26:27], v[162:163]
	v_mul_f64_e32 v[68:69], s[28:29], v[156:157]
	s_delay_alu instid0(VALU_DEP_4) | instskip(NEXT) | instid1(VALU_DEP_3)
	v_add_f64_e32 v[8:9], v[8:9], v[142:143]
	v_fma_f64 v[14:15], v[66:67], s[18:19], v[10:11]
	s_delay_alu instid0(VALU_DEP_3) | instskip(SKIP_2) | instid1(VALU_DEP_4)
	v_fma_f64 v[16:17], v[160:161], s[2:3], -v[68:69]
	v_fma_f64 v[68:69], v[160:161], s[2:3], v[68:69]
	v_fma_f64 v[10:11], v[66:67], s[18:19], -v[10:11]
	v_add_f64_e32 v[14:15], v[14:15], v[72:73]
	v_mul_f64_e32 v[72:73], s[28:29], v[162:163]
	s_delay_alu instid0(VALU_DEP_4) | instskip(NEXT) | instid1(VALU_DEP_4)
	v_add_f64_e32 v[136:137], v[68:69], v[70:71]
	v_add_f64_e32 v[10:11], v[10:11], v[140:141]
	;; [unrolled: 1-line block ×3, first 2 shown]
	s_delay_alu instid0(VALU_DEP_4) | instskip(SKIP_1) | instid1(VALU_DEP_2)
	v_fma_f64 v[68:69], v[66:67], s[2:3], -v[72:73]
	v_fma_f64 v[18:19], v[66:67], s[2:3], v[72:73]
	v_add_f64_e32 v[138:139], v[68:69], v[74:75]
	v_mul_f64_e32 v[68:69], s[22:23], v[156:157]
	s_delay_alu instid0(VALU_DEP_3) | instskip(NEXT) | instid1(VALU_DEP_2)
	v_add_f64_e32 v[18:19], v[18:19], v[80:81]
	v_fma_f64 v[70:71], v[160:161], s[16:17], -v[68:69]
	v_fma_f64 v[68:69], v[160:161], s[16:17], v[68:69]
	s_delay_alu instid0(VALU_DEP_2) | instskip(SKIP_1) | instid1(VALU_DEP_3)
	v_add_f64_e32 v[140:141], v[70:71], v[84:85]
	v_mul_f64_e32 v[70:71], s[22:23], v[162:163]
	v_add_f64_e32 v[144:145], v[68:69], v[78:79]
	s_delay_alu instid0(VALU_DEP_2) | instskip(SKIP_1) | instid1(VALU_DEP_2)
	v_fma_f64 v[68:69], v[66:67], s[16:17], -v[70:71]
	v_fma_f64 v[72:73], v[66:67], s[16:17], v[70:71]
	v_add_f64_e32 v[146:147], v[68:69], v[82:83]
	v_mul_f64_e32 v[68:69], s[30:31], v[156:157]
	s_delay_alu instid0(VALU_DEP_3) | instskip(NEXT) | instid1(VALU_DEP_2)
	v_add_f64_e32 v[142:143], v[72:73], v[88:89]
	v_fma_f64 v[70:71], v[160:161], s[12:13], -v[68:69]
	v_fma_f64 v[68:69], v[160:161], s[12:13], v[68:69]
	s_delay_alu instid0(VALU_DEP_2) | instskip(SKIP_1) | instid1(VALU_DEP_1)
	v_add_f64_e32 v[148:149], v[70:71], v[92:93]
	v_mul_f64_e32 v[70:71], s[30:31], v[162:163]
	v_fma_f64 v[72:73], v[66:67], s[12:13], v[70:71]
	s_delay_alu instid0(VALU_DEP_1) | instskip(SKIP_2) | instid1(VALU_DEP_1)
	v_add_f64_e32 v[150:151], v[72:73], v[152:153]
	v_add_f64_e32 v[152:153], v[68:69], v[86:87]
	v_fma_f64 v[68:69], v[66:67], s[12:13], -v[70:71]
	v_add_f64_e32 v[154:155], v[68:69], v[90:91]
	v_mul_f64_e32 v[68:69], s[20:21], v[156:157]
	s_delay_alu instid0(VALU_DEP_1) | instskip(SKIP_1) | instid1(VALU_DEP_2)
	v_fma_f64 v[70:71], v[160:161], s[14:15], -v[68:69]
	v_fma_f64 v[68:69], v[160:161], s[14:15], v[68:69]
	v_add_f64_e32 v[156:157], v[70:71], v[94:95]
	v_mul_f64_e32 v[70:71], s[20:21], v[162:163]
	s_delay_alu instid0(VALU_DEP_3) | instskip(NEXT) | instid1(VALU_DEP_2)
	v_add_f64_e32 v[160:161], v[68:69], v[64:65]
	v_fma_f64 v[72:73], v[66:67], s[14:15], v[70:71]
	v_fma_f64 v[64:65], v[66:67], s[14:15], -v[70:71]
	v_add_f64_e64 v[66:67], v[56:57], -v[20:21]
	s_delay_alu instid0(VALU_DEP_3) | instskip(NEXT) | instid1(VALU_DEP_3)
	v_add_f64_e32 v[158:159], v[72:73], v[158:159]
	v_add_f64_e32 v[162:163], v[64:65], v[22:23]
	;; [unrolled: 1-line block ×3, first 2 shown]
	v_add_f64_e64 v[64:65], v[54:55], -v[62:63]
	v_mul_f64_e32 v[170:171], s[24:25], v[66:67]
	v_mul_f64_e32 v[174:175], s[36:37], v[66:67]
	;; [unrolled: 1-line block ×6, first 2 shown]
	v_fma_f64 v[68:69], v[22:23], s[2:3], v[170:171]
	v_mul_f64_e32 v[176:177], s[36:37], v[64:65]
	v_fma_f64 v[72:73], v[22:23], s[12:13], v[174:175]
	v_fma_f64 v[78:79], v[22:23], s[14:15], -v[76:77]
	v_mul_f64_e32 v[80:81], s[20:21], v[64:65]
	v_fma_f64 v[76:77], v[22:23], s[14:15], v[76:77]
	v_fma_f64 v[86:87], v[22:23], s[16:17], -v[84:85]
	;; [unrolled: 3-line block ×4, first 2 shown]
	v_add_f64_e32 v[68:69], v[0:1], v[68:69]
	v_fma_f64 v[74:75], v[164:165], s[12:13], -v[176:177]
	v_add_f64_e32 v[72:73], v[0:1], v[72:73]
	v_add_f64_e32 v[78:79], v[0:1], v[78:79]
	v_fma_f64 v[82:83], v[164:165], s[14:15], v[80:81]
	v_add_f64_e32 v[76:77], v[0:1], v[76:77]
	v_fma_f64 v[80:81], v[164:165], s[14:15], -v[80:81]
	v_add_f64_e32 v[86:87], v[0:1], v[86:87]
	v_fma_f64 v[90:91], v[164:165], s[16:17], v[88:89]
	v_add_f64_e32 v[84:85], v[0:1], v[84:85]
	v_fma_f64 v[88:89], v[164:165], s[16:17], -v[88:89]
	v_add_f64_e32 v[92:93], v[0:1], v[92:93]
	v_fma_f64 v[94:95], v[164:165], s[18:19], v[64:65]
	v_fma_f64 v[64:65], v[164:165], s[18:19], -v[64:65]
	v_add_f64_e32 v[66:67], v[0:1], v[66:67]
	v_add_f64_e32 v[70:71], v[2:3], v[70:71]
	;; [unrolled: 1-line block ×3, first 2 shown]
	v_fma_f64 v[192:193], v[168:169], s[12:13], -v[181:182]
	v_add_f64_e32 v[74:75], v[2:3], v[74:75]
	v_add_f64_e32 v[82:83], v[2:3], v[82:83]
	;; [unrolled: 1-line block ×8, first 2 shown]
	v_fma_f64 v[192:193], v[166:167], s[16:17], v[212:213]
	s_delay_alu instid0(VALU_DEP_1) | instskip(SKIP_1) | instid1(VALU_DEP_1)
	v_add_f64_e32 v[72:73], v[192:193], v[72:73]
	v_fma_f64 v[192:193], v[168:169], s[16:17], -v[214:215]
	v_add_f64_e32 v[74:75], v[192:193], v[74:75]
	v_mul_f64_e32 v[192:193], s[38:39], v[185:186]
	s_delay_alu instid0(VALU_DEP_1) | instskip(SKIP_1) | instid1(VALU_DEP_2)
	v_fma_f64 v[194:195], v[166:167], s[18:19], -v[192:193]
	v_fma_f64 v[192:193], v[166:167], s[18:19], v[192:193]
	v_add_f64_e32 v[78:79], v[194:195], v[78:79]
	v_mul_f64_e32 v[194:195], s[38:39], v[183:184]
	s_delay_alu instid0(VALU_DEP_3) | instskip(NEXT) | instid1(VALU_DEP_2)
	v_add_f64_e32 v[76:77], v[192:193], v[76:77]
	v_fma_f64 v[192:193], v[168:169], s[18:19], -v[194:195]
	v_fma_f64 v[196:197], v[168:169], s[18:19], v[194:195]
	s_delay_alu instid0(VALU_DEP_2) | instskip(SKIP_2) | instid1(VALU_DEP_4)
	v_add_f64_e32 v[80:81], v[192:193], v[80:81]
	v_mul_f64_e32 v[192:193], s[34:35], v[185:186]
	v_mul_f64_e32 v[185:186], s[28:29], v[185:186]
	v_add_f64_e32 v[82:83], v[196:197], v[82:83]
	s_delay_alu instid0(VALU_DEP_3) | instskip(SKIP_1) | instid1(VALU_DEP_2)
	v_fma_f64 v[194:195], v[166:167], s[14:15], -v[192:193]
	v_fma_f64 v[192:193], v[166:167], s[14:15], v[192:193]
	v_add_f64_e32 v[86:87], v[194:195], v[86:87]
	v_mul_f64_e32 v[194:195], s[34:35], v[183:184]
	s_delay_alu instid0(VALU_DEP_3) | instskip(SKIP_1) | instid1(VALU_DEP_3)
	v_add_f64_e32 v[84:85], v[192:193], v[84:85]
	v_mul_f64_e32 v[183:184], s[28:29], v[183:184]
	v_fma_f64 v[192:193], v[168:169], s[14:15], -v[194:195]
	v_fma_f64 v[196:197], v[168:169], s[14:15], v[194:195]
	v_add_f64_e64 v[194:195], v[32:33], -v[52:53]
	s_delay_alu instid0(VALU_DEP_3) | instskip(SKIP_2) | instid1(VALU_DEP_4)
	v_add_f64_e32 v[88:89], v[192:193], v[88:89]
	v_fma_f64 v[192:193], v[166:167], s[2:3], -v[185:186]
	v_fma_f64 v[185:186], v[166:167], s[2:3], v[185:186]
	v_mul_f64_e32 v[216:217], s[20:21], v[194:195]
	v_add_f64_e32 v[90:91], v[196:197], v[90:91]
	v_mul_f64_e32 v[228:229], s[38:39], v[194:195]
	v_add_f64_e32 v[92:93], v[192:193], v[92:93]
	v_fma_f64 v[192:193], v[168:169], s[2:3], v[183:184]
	v_fma_f64 v[183:184], v[168:169], s[2:3], -v[183:184]
	v_add_f64_e32 v[66:67], v[185:186], v[66:67]
	v_add_f64_e32 v[185:186], v[32:33], v[52:53]
	s_delay_alu instid0(VALU_DEP_4) | instskip(NEXT) | instid1(VALU_DEP_4)
	v_add_f64_e32 v[94:95], v[192:193], v[94:95]
	v_add_f64_e32 v[64:65], v[183:184], v[64:65]
	;; [unrolled: 1-line block ×3, first 2 shown]
	v_add_f64_e64 v[192:193], v[30:31], -v[50:51]
	s_delay_alu instid0(VALU_DEP_2) | instskip(NEXT) | instid1(VALU_DEP_2)
	v_fma_f64 v[196:197], v[183:184], s[14:15], v[216:217]
	v_mul_f64_e32 v[218:219], s[20:21], v[192:193]
	v_mul_f64_e32 v[230:231], s[38:39], v[192:193]
	s_delay_alu instid0(VALU_DEP_3) | instskip(NEXT) | instid1(VALU_DEP_3)
	v_add_f64_e32 v[68:69], v[196:197], v[68:69]
	v_fma_f64 v[196:197], v[185:186], s[14:15], -v[218:219]
	s_delay_alu instid0(VALU_DEP_1) | instskip(SKIP_1) | instid1(VALU_DEP_1)
	v_add_f64_e32 v[70:71], v[196:197], v[70:71]
	v_fma_f64 v[196:197], v[183:184], s[18:19], v[228:229]
	v_add_f64_e32 v[72:73], v[196:197], v[72:73]
	v_fma_f64 v[196:197], v[185:186], s[18:19], -v[230:231]
	s_delay_alu instid0(VALU_DEP_1) | instskip(SKIP_1) | instid1(VALU_DEP_1)
	v_add_f64_e32 v[74:75], v[196:197], v[74:75]
	v_mul_f64_e32 v[196:197], s[30:31], v[194:195]
	v_fma_f64 v[198:199], v[183:184], s[12:13], -v[196:197]
	v_fma_f64 v[196:197], v[183:184], s[12:13], v[196:197]
	s_delay_alu instid0(VALU_DEP_2) | instskip(SKIP_1) | instid1(VALU_DEP_3)
	v_add_f64_e32 v[78:79], v[198:199], v[78:79]
	v_mul_f64_e32 v[198:199], s[30:31], v[192:193]
	v_add_f64_e32 v[76:77], v[196:197], v[76:77]
	s_delay_alu instid0(VALU_DEP_2) | instskip(SKIP_1) | instid1(VALU_DEP_2)
	v_fma_f64 v[196:197], v[185:186], s[12:13], -v[198:199]
	v_fma_f64 v[200:201], v[185:186], s[12:13], v[198:199]
	v_add_f64_e32 v[80:81], v[196:197], v[80:81]
	v_mul_f64_e32 v[196:197], s[24:25], v[194:195]
	v_mul_f64_e32 v[194:195], s[22:23], v[194:195]
	s_delay_alu instid0(VALU_DEP_4) | instskip(NEXT) | instid1(VALU_DEP_3)
	v_add_f64_e32 v[82:83], v[200:201], v[82:83]
	v_fma_f64 v[198:199], v[183:184], s[2:3], -v[196:197]
	v_fma_f64 v[196:197], v[183:184], s[2:3], v[196:197]
	s_delay_alu instid0(VALU_DEP_2) | instskip(SKIP_1) | instid1(VALU_DEP_3)
	v_add_f64_e32 v[86:87], v[198:199], v[86:87]
	v_mul_f64_e32 v[198:199], s[24:25], v[192:193]
	v_add_f64_e32 v[84:85], v[196:197], v[84:85]
	v_mul_f64_e32 v[192:193], s[22:23], v[192:193]
	s_delay_alu instid0(VALU_DEP_3) | instskip(SKIP_1) | instid1(VALU_DEP_2)
	v_fma_f64 v[196:197], v[185:186], s[2:3], -v[198:199]
	v_fma_f64 v[200:201], v[185:186], s[2:3], v[198:199]
	v_add_f64_e32 v[88:89], v[196:197], v[88:89]
	v_fma_f64 v[196:197], v[183:184], s[16:17], -v[194:195]
	v_fma_f64 v[194:195], v[183:184], s[16:17], v[194:195]
	s_delay_alu instid0(VALU_DEP_4) | instskip(NEXT) | instid1(VALU_DEP_3)
	v_add_f64_e32 v[90:91], v[200:201], v[90:91]
	v_add_f64_e32 v[92:93], v[196:197], v[92:93]
	v_fma_f64 v[196:197], v[185:186], s[16:17], v[192:193]
	s_delay_alu instid0(VALU_DEP_4) | instskip(SKIP_2) | instid1(VALU_DEP_4)
	v_add_f64_e32 v[66:67], v[194:195], v[66:67]
	v_fma_f64 v[192:193], v[185:186], s[16:17], -v[192:193]
	v_add_f64_e64 v[194:195], v[36:37], -v[48:49]
	v_add_f64_e32 v[94:95], v[196:197], v[94:95]
	s_delay_alu instid0(VALU_DEP_3) | instskip(SKIP_1) | instid1(VALU_DEP_4)
	v_add_f64_e32 v[64:65], v[192:193], v[64:65]
	v_add_f64_e64 v[192:193], v[34:35], -v[46:47]
	v_mul_f64_e32 v[232:233], s[22:23], v[194:195]
	v_mul_f64_e32 v[240:241], s[34:35], v[194:195]
	s_delay_alu instid0(VALU_DEP_3) | instskip(NEXT) | instid1(VALU_DEP_3)
	v_mul_f64_e32 v[234:235], s[22:23], v[192:193]
	v_fma_f64 v[196:197], v[220:221], s[16:17], v[232:233]
	v_mul_f64_e32 v[242:243], s[34:35], v[192:193]
	s_delay_alu instid0(VALU_DEP_2) | instskip(NEXT) | instid1(VALU_DEP_4)
	v_add_f64_e32 v[68:69], v[196:197], v[68:69]
	v_fma_f64 v[196:197], v[222:223], s[16:17], -v[234:235]
	s_delay_alu instid0(VALU_DEP_1) | instskip(SKIP_1) | instid1(VALU_DEP_1)
	v_add_f64_e32 v[70:71], v[196:197], v[70:71]
	v_fma_f64 v[196:197], v[220:221], s[14:15], v[240:241]
	v_add_f64_e32 v[72:73], v[196:197], v[72:73]
	v_fma_f64 v[196:197], v[222:223], s[14:15], -v[242:243]
	s_delay_alu instid0(VALU_DEP_1) | instskip(SKIP_1) | instid1(VALU_DEP_1)
	v_add_f64_e32 v[74:75], v[196:197], v[74:75]
	v_mul_f64_e32 v[196:197], s[24:25], v[194:195]
	v_fma_f64 v[198:199], v[220:221], s[2:3], -v[196:197]
	v_fma_f64 v[196:197], v[220:221], s[2:3], v[196:197]
	s_delay_alu instid0(VALU_DEP_2) | instskip(SKIP_1) | instid1(VALU_DEP_3)
	v_add_f64_e32 v[78:79], v[198:199], v[78:79]
	v_mul_f64_e32 v[198:199], s[24:25], v[192:193]
	v_add_f64_e32 v[76:77], v[196:197], v[76:77]
	s_delay_alu instid0(VALU_DEP_2) | instskip(SKIP_1) | instid1(VALU_DEP_2)
	v_fma_f64 v[196:197], v[222:223], s[2:3], -v[198:199]
	v_fma_f64 v[200:201], v[222:223], s[2:3], v[198:199]
	v_add_f64_e32 v[80:81], v[196:197], v[80:81]
	v_mul_f64_e32 v[196:197], s[26:27], v[194:195]
	v_mul_f64_e32 v[194:195], s[30:31], v[194:195]
	s_delay_alu instid0(VALU_DEP_4) | instskip(NEXT) | instid1(VALU_DEP_3)
	v_add_f64_e32 v[82:83], v[200:201], v[82:83]
	v_fma_f64 v[198:199], v[220:221], s[18:19], -v[196:197]
	v_fma_f64 v[196:197], v[220:221], s[18:19], v[196:197]
	s_delay_alu instid0(VALU_DEP_2) | instskip(SKIP_1) | instid1(VALU_DEP_3)
	v_add_f64_e32 v[86:87], v[198:199], v[86:87]
	v_mul_f64_e32 v[198:199], s[26:27], v[192:193]
	v_add_f64_e32 v[84:85], v[196:197], v[84:85]
	v_mul_f64_e32 v[192:193], s[30:31], v[192:193]
	s_delay_alu instid0(VALU_DEP_3) | instskip(SKIP_1) | instid1(VALU_DEP_2)
	v_fma_f64 v[196:197], v[222:223], s[18:19], -v[198:199]
	v_fma_f64 v[200:201], v[222:223], s[18:19], v[198:199]
	v_add_f64_e32 v[88:89], v[196:197], v[88:89]
	v_fma_f64 v[196:197], v[220:221], s[12:13], -v[194:195]
	v_fma_f64 v[194:195], v[220:221], s[12:13], v[194:195]
	s_delay_alu instid0(VALU_DEP_4) | instskip(NEXT) | instid1(VALU_DEP_3)
	v_add_f64_e32 v[90:91], v[200:201], v[90:91]
	v_add_f64_e32 v[92:93], v[196:197], v[92:93]
	v_fma_f64 v[196:197], v[222:223], s[12:13], v[192:193]
	v_fma_f64 v[192:193], v[222:223], s[12:13], -v[192:193]
	v_add_f64_e32 v[66:67], v[194:195], v[66:67]
	s_delay_alu instid0(VALU_DEP_3) | instskip(NEXT) | instid1(VALU_DEP_3)
	v_add_f64_e32 v[94:95], v[196:197], v[94:95]
	v_add_f64_e32 v[64:65], v[192:193], v[64:65]
	v_fma_f64 v[192:193], v[236:237], s[18:19], v[244:245]
	s_delay_alu instid0(VALU_DEP_1) | instskip(SKIP_1) | instid1(VALU_DEP_1)
	v_add_f64_e32 v[192:193], v[192:193], v[68:69]
	v_fma_f64 v[68:69], v[238:239], s[18:19], -v[246:247]
	v_add_f64_e32 v[194:195], v[68:69], v[70:71]
	v_fma_f64 v[68:69], v[236:237], s[2:3], v[248:249]
	v_fma_f64 v[70:71], v[238:239], s[2:3], -v[250:251]
	s_delay_alu instid0(VALU_DEP_2) | instskip(SKIP_1) | instid1(VALU_DEP_3)
	v_add_f64_e32 v[68:69], v[68:69], v[72:73]
	v_mul_f64_e32 v[72:73], s[22:23], v[208:209]
	v_add_f64_e32 v[70:71], v[70:71], v[74:75]
	scratch_store_b128 off, v[192:195], off ; 16-byte Folded Spill
	v_fma_f64 v[74:75], v[236:237], s[16:17], -v[72:73]
	scratch_store_b128 off, v[68:71], off offset:16 ; 16-byte Folded Spill
	v_fma_f64 v[72:73], v[236:237], s[16:17], v[72:73]
	v_add_f64_e32 v[68:69], v[74:75], v[78:79]
	v_mul_f64_e32 v[74:75], s[22:23], v[210:211]
	s_delay_alu instid0(VALU_DEP_1) | instskip(NEXT) | instid1(VALU_DEP_1)
	v_fma_f64 v[78:79], v[238:239], s[16:17], v[74:75]
	v_add_f64_e32 v[70:71], v[78:79], v[82:83]
	scratch_store_b128 off, v[68:71], off offset:32 ; 16-byte Folded Spill
	v_add_f64_e32 v[68:69], v[72:73], v[76:77]
	v_fma_f64 v[72:73], v[238:239], s[16:17], -v[74:75]
	s_delay_alu instid0(VALU_DEP_1) | instskip(SKIP_4) | instid1(VALU_DEP_2)
	v_add_f64_e32 v[70:71], v[72:73], v[80:81]
	v_mul_f64_e32 v[72:73], s[30:31], v[208:209]
	scratch_store_b128 off, v[68:71], off offset:48 ; 16-byte Folded Spill
	v_fma_f64 v[74:75], v[236:237], s[12:13], -v[72:73]
	v_fma_f64 v[72:73], v[236:237], s[12:13], v[72:73]
	v_add_f64_e32 v[68:69], v[74:75], v[86:87]
	v_mul_f64_e32 v[74:75], s[30:31], v[210:211]
	s_delay_alu instid0(VALU_DEP_3) | instskip(NEXT) | instid1(VALU_DEP_2)
	v_add_f64_e32 v[204:205], v[72:73], v[84:85]
	v_fma_f64 v[72:73], v[238:239], s[12:13], -v[74:75]
	v_fma_f64 v[76:77], v[238:239], s[12:13], v[74:75]
	s_delay_alu instid0(VALU_DEP_2) | instskip(SKIP_1) | instid1(VALU_DEP_3)
	v_add_f64_e32 v[206:207], v[72:73], v[88:89]
	v_mul_f64_e32 v[72:73], s[20:21], v[208:209]
	v_add_f64_e32 v[70:71], v[76:77], v[90:91]
	s_delay_alu instid0(VALU_DEP_2)
	v_fma_f64 v[74:75], v[236:237], s[14:15], -v[72:73]
	v_fma_f64 v[72:73], v[236:237], s[14:15], v[72:73]
	scratch_store_b128 off, v[68:71], off offset:64 ; 16-byte Folded Spill
	global_wb scope:SCOPE_SE
	s_wait_storecnt 0x0
	s_barrier_signal -1
	s_barrier_wait -1
	global_inv scope:SCOPE_SE
	ds_store_b128 v191, v[4:7]
	ds_store_b128 v191, v[12:15] offset:32
	ds_store_b128 v191, v[16:19] offset:64
	;; [unrolled: 1-line block ×10, first 2 shown]
	v_lshrrev_b32_e32 v4, 1, v187
	scratch_store_b32 off, v4, off offset:504 ; 4-byte Folded Spill
	v_add_f64_e32 v[208:209], v[74:75], v[92:93]
	v_mul_f64_e32 v[74:75], s[20:21], v[210:211]
	v_add_f64_e32 v[224:225], v[72:73], v[66:67]
	s_delay_alu instid0(VALU_DEP_2) | instskip(SKIP_1) | instid1(VALU_DEP_2)
	v_fma_f64 v[76:77], v[238:239], s[14:15], v[74:75]
	v_fma_f64 v[66:67], v[238:239], s[14:15], -v[74:75]
	v_add_f64_e32 v[210:211], v[76:77], v[94:95]
	s_delay_alu instid0(VALU_DEP_2)
	v_add_f64_e32 v[226:227], v[66:67], v[64:65]
	s_and_saveexec_b32 s20, vcc_lo
	s_cbranch_execz .LBB0_5
; %bb.4:
	v_mul_f64_e32 v[4:5], s[12:13], v[164:165]
	v_mul_f64_e32 v[6:7], s[12:13], v[22:23]
	;; [unrolled: 1-line block ×4, first 2 shown]
	v_add_f64_e32 v[12:13], v[2:3], v[56:57]
	v_add_f64_e32 v[14:15], v[0:1], v[54:55]
	v_mul_f64_e32 v[16:17], s[18:19], v[185:186]
	v_mul_f64_e32 v[18:19], s[18:19], v[183:184]
	;; [unrolled: 1-line block ×4, first 2 shown]
	v_add_f64_e32 v[4:5], v[176:177], v[4:5]
	v_add_f64_e64 v[6:7], v[6:7], -v[174:175]
	v_add_f64_e32 v[8:9], v[172:173], v[8:9]
	v_add_f64_e64 v[10:11], v[10:11], -v[170:171]
	;; [unrolled: 2-line block ×4, first 2 shown]
	v_add_f64_e32 v[4:5], v[2:3], v[4:5]
	v_add_f64_e32 v[6:7], v[0:1], v[6:7]
	;; [unrolled: 1-line block ×4, first 2 shown]
	v_mul_f64_e32 v[0:1], s[16:17], v[168:169]
	v_mul_f64_e32 v[2:3], s[16:17], v[166:167]
	s_delay_alu instid0(VALU_DEP_2) | instskip(NEXT) | instid1(VALU_DEP_2)
	v_add_f64_e32 v[0:1], v[214:215], v[0:1]
	v_add_f64_e64 v[2:3], v[2:3], -v[212:213]
	s_delay_alu instid0(VALU_DEP_2) | instskip(NEXT) | instid1(VALU_DEP_2)
	v_add_f64_e32 v[0:1], v[0:1], v[4:5]
	v_add_f64_e32 v[2:3], v[2:3], v[6:7]
	v_mul_f64_e32 v[4:5], s[2:3], v[238:239]
	v_mul_f64_e32 v[6:7], s[2:3], v[236:237]
	s_delay_alu instid0(VALU_DEP_4) | instskip(NEXT) | instid1(VALU_DEP_4)
	v_add_f64_e32 v[0:1], v[16:17], v[0:1]
	v_add_f64_e32 v[2:3], v[18:19], v[2:3]
	s_delay_alu instid0(VALU_DEP_4) | instskip(NEXT) | instid1(VALU_DEP_4)
	v_add_f64_e32 v[4:5], v[250:251], v[4:5]
	v_add_f64_e64 v[6:7], v[6:7], -v[248:249]
	v_mul_f64_e32 v[18:19], s[14:15], v[183:184]
	v_add_f64_e32 v[0:1], v[22:23], v[0:1]
	v_add_f64_e32 v[16:17], v[54:55], v[2:3]
	v_mul_f64_e32 v[22:23], s[16:17], v[222:223]
	v_mul_f64_e32 v[54:55], s[16:17], v[220:221]
	v_add_f64_e64 v[18:19], v[18:19], -v[216:217]
	v_add_f64_e32 v[2:3], v[4:5], v[0:1]
	v_add_f64_e32 v[0:1], v[6:7], v[16:17]
	v_mul_f64_e32 v[4:5], s[12:13], v[168:169]
	v_mul_f64_e32 v[6:7], s[12:13], v[166:167]
	;; [unrolled: 1-line block ×3, first 2 shown]
	v_add_f64_e32 v[22:23], v[234:235], v[22:23]
	v_add_f64_e64 v[54:55], v[54:55], -v[232:233]
	v_add_f64_e32 v[4:5], v[181:182], v[4:5]
	v_add_f64_e64 v[6:7], v[6:7], -v[178:179]
	v_add_f64_e32 v[16:17], v[218:219], v[16:17]
	s_delay_alu instid0(VALU_DEP_3) | instskip(NEXT) | instid1(VALU_DEP_3)
	v_add_f64_e32 v[4:5], v[4:5], v[8:9]
	v_add_f64_e32 v[6:7], v[6:7], v[10:11]
	v_mul_f64_e32 v[8:9], s[18:19], v[238:239]
	v_mul_f64_e32 v[10:11], s[18:19], v[236:237]
	s_delay_alu instid0(VALU_DEP_4) | instskip(NEXT) | instid1(VALU_DEP_4)
	v_add_f64_e32 v[4:5], v[16:17], v[4:5]
	v_add_f64_e32 v[6:7], v[18:19], v[6:7]
	s_delay_alu instid0(VALU_DEP_4) | instskip(NEXT) | instid1(VALU_DEP_4)
	v_add_f64_e32 v[8:9], v[246:247], v[8:9]
	v_add_f64_e64 v[10:11], v[10:11], -v[244:245]
	s_delay_alu instid0(VALU_DEP_4) | instskip(NEXT) | instid1(VALU_DEP_4)
	v_add_f64_e32 v[4:5], v[22:23], v[4:5]
	v_add_f64_e32 v[16:17], v[54:55], v[6:7]
	s_delay_alu instid0(VALU_DEP_2) | instskip(NEXT) | instid1(VALU_DEP_2)
	v_add_f64_e32 v[6:7], v[8:9], v[4:5]
	v_add_f64_e32 v[4:5], v[10:11], v[16:17]
	;; [unrolled: 1-line block ×4, first 2 shown]
	s_delay_alu instid0(VALU_DEP_2) | instskip(NEXT) | instid1(VALU_DEP_2)
	v_add_f64_e32 v[8:9], v[8:9], v[32:33]
	v_add_f64_e32 v[10:11], v[10:11], v[30:31]
	s_delay_alu instid0(VALU_DEP_2) | instskip(NEXT) | instid1(VALU_DEP_2)
	v_add_f64_e32 v[8:9], v[8:9], v[36:37]
	v_add_f64_e32 v[10:11], v[10:11], v[34:35]
	;; [unrolled: 3-line block ×8, first 2 shown]
	v_lshrrev_b32_e32 v12, 1, v187
	v_and_b32_e32 v13, 1, v187
	s_delay_alu instid0(VALU_DEP_2) | instskip(NEXT) | instid1(VALU_DEP_1)
	v_mul_u32_u24_e32 v12, 22, v12
	v_or_b32_e32 v12, v12, v13
	s_delay_alu instid0(VALU_DEP_1)
	v_lshl_add_u32 v12, v12, 4, v203
	ds_store_b128 v12, v[0:3] offset:64
	ds_store_b128 v12, v[4:7] offset:32
	ds_store_b128 v12, v[8:11]
	scratch_load_b128 v[0:3], off, off offset:64 ; 16-byte Folded Reload
	s_wait_loadcnt 0x0
	ds_store_b128 v12, v[0:3] offset:128
	ds_store_b128 v12, v[208:211] offset:160
	;; [unrolled: 1-line block ×4, first 2 shown]
	scratch_load_b128 v[0:3], off, off offset:48 ; 16-byte Folded Reload
	s_wait_loadcnt 0x0
	ds_store_b128 v12, v[0:3] offset:256
	scratch_load_b128 v[0:3], off, off offset:16 ; 16-byte Folded Reload
	s_wait_loadcnt 0x0
	ds_store_b128 v12, v[0:3] offset:288
	;; [unrolled: 3-line block ×3, first 2 shown]
	scratch_load_b128 v[0:3], off, off      ; 16-byte Folded Reload
	s_wait_loadcnt 0x0
	ds_store_b128 v12, v[0:3] offset:320
.LBB0_5:
	s_wait_alu 0xfffe
	s_or_b32 exec_lo, exec_lo, s20
	v_lshrrev_b16 v0, 1, v202
	global_wb scope:SCOPE_SE
	s_wait_storecnt_dscnt 0x0
	s_barrier_signal -1
	s_barrier_wait -1
	global_inv scope:SCOPE_SE
	v_and_b32_e32 v0, 0x7f, v0
	s_mov_b32 s28, 0xe976ee23
	s_mov_b32 s29, 0xbfe11646
	s_mov_b32 s14, 0x429ad128
	s_mov_b32 s18, 0x37e14327
	v_mul_lo_u16 v0, 0xbb, v0
	s_mov_b32 s15, 0x3febfeb5
	s_mov_b32 s19, 0x3fe948f6
	s_mov_b32 s2, 0x36b3c0b5
	s_mov_b32 s24, 0xaaaaaaaa
	v_lshrrev_b16 v46, 11, v0
	s_mov_b32 s26, 0x5476071b
	s_mov_b32 s16, 0xb247c609
	;; [unrolled: 1-line block ×4, first 2 shown]
	v_mul_lo_u16 v0, v46, 22
	s_mov_b32 s27, 0x3fe77f67
	s_mov_b32 s21, 0xbfe77f67
	s_mov_b32 s17, 0x3fd5d0dc
	s_mov_b32 s23, 0xbfd5d0dc
	v_sub_nc_u16 v0, v202, v0
	s_wait_alu 0xfffe
	s_mov_b32 s22, s16
	s_mov_b32 s20, s26
	;; [unrolled: 1-line block ×4, first 2 shown]
	v_and_b32_e32 v47, 0xff, v0
	v_and_b32_e32 v28, 0xffff, v46
	v_lshl_add_u32 v183, v202, 4, v203
	s_delay_alu instid0(VALU_DEP_3) | instskip(NEXT) | instid1(VALU_DEP_3)
	v_mad_co_u64_u32 v[24:25], null, 0x60, v47, s[10:11]
	v_mul_u32_u24_e32 v28, 0x9a, v28
	s_clause 0x5
	global_load_b128 v[148:151], v[24:25], off offset:320
	global_load_b128 v[144:147], v[24:25], off offset:336
	;; [unrolled: 1-line block ×6, first 2 shown]
	ds_load_b128 v[0:3], v188 offset:2464
	ds_load_b128 v[10:13], v188 offset:4928
	v_add_nc_u32_e32 v28, v28, v47
	s_wait_loadcnt_dscnt 0x501
	v_mul_f64_e32 v[4:5], v[2:3], v[150:151]
	v_mul_f64_e32 v[8:9], v[0:1], v[150:151]
	s_delay_alu instid0(VALU_DEP_2) | instskip(NEXT) | instid1(VALU_DEP_2)
	v_fma_f64 v[6:7], v[0:1], v[148:149], -v[4:5]
	v_fma_f64 v[4:5], v[2:3], v[148:149], v[8:9]
	s_wait_loadcnt_dscnt 0x400
	v_mul_f64_e32 v[0:1], v[12:13], v[146:147]
	v_mul_f64_e32 v[2:3], v[10:11], v[146:147]
	s_delay_alu instid0(VALU_DEP_2) | instskip(NEXT) | instid1(VALU_DEP_2)
	v_fma_f64 v[10:11], v[10:11], v[144:145], -v[0:1]
	v_fma_f64 v[8:9], v[12:13], v[144:145], v[2:3]
	ds_load_b128 v[0:3], v188 offset:7392
	s_wait_loadcnt_dscnt 0x300
	v_mul_f64_e32 v[12:13], v[2:3], v[138:139]
	s_delay_alu instid0(VALU_DEP_1) | instskip(SKIP_1) | instid1(VALU_DEP_1)
	v_fma_f64 v[14:15], v[0:1], v[136:137], -v[12:13]
	v_mul_f64_e32 v[0:1], v[0:1], v[138:139]
	v_fma_f64 v[12:13], v[2:3], v[136:137], v[0:1]
	ds_load_b128 v[0:3], v188 offset:9856
	s_wait_loadcnt_dscnt 0x200
	v_mul_f64_e32 v[16:17], v[2:3], v[142:143]
	s_delay_alu instid0(VALU_DEP_1) | instskip(SKIP_1) | instid1(VALU_DEP_2)
	v_fma_f64 v[18:19], v[0:1], v[140:141], -v[16:17]
	v_mul_f64_e32 v[0:1], v[0:1], v[142:143]
	v_add_f64_e32 v[66:67], v[14:15], v[18:19]
	s_delay_alu instid0(VALU_DEP_2)
	v_fma_f64 v[16:17], v[2:3], v[140:141], v[0:1]
	ds_load_b128 v[0:3], v188 offset:12320
	v_add_f64_e64 v[14:15], v[18:19], -v[14:15]
	s_wait_loadcnt_dscnt 0x100
	v_mul_f64_e32 v[20:21], v[2:3], v[154:155]
	v_add_f64_e32 v[78:79], v[12:13], v[16:17]
	v_add_f64_e64 v[12:13], v[16:17], -v[12:13]
	s_delay_alu instid0(VALU_DEP_3) | instskip(SKIP_1) | instid1(VALU_DEP_2)
	v_fma_f64 v[22:23], v[0:1], v[152:153], -v[20:21]
	v_mul_f64_e32 v[0:1], v[0:1], v[154:155]
	v_add_f64_e32 v[64:65], v[10:11], v[22:23]
	s_delay_alu instid0(VALU_DEP_2)
	v_fma_f64 v[20:21], v[2:3], v[152:153], v[0:1]
	ds_load_b128 v[0:3], v188 offset:14784
	v_add_f64_e64 v[10:11], v[10:11], -v[22:23]
	s_wait_loadcnt_dscnt 0x0
	v_mul_f64_e32 v[24:25], v[2:3], v[158:159]
	v_add_f64_e64 v[22:23], v[66:67], -v[64:65]
	v_add_f64_e32 v[76:77], v[8:9], v[20:21]
	s_delay_alu instid0(VALU_DEP_3) | instskip(SKIP_1) | instid1(VALU_DEP_2)
	v_fma_f64 v[26:27], v[0:1], v[156:157], -v[24:25]
	v_mul_f64_e32 v[0:1], v[0:1], v[158:159]
	v_add_f64_e32 v[62:63], v[6:7], v[26:27]
	s_delay_alu instid0(VALU_DEP_2)
	v_fma_f64 v[24:25], v[2:3], v[156:157], v[0:1]
	v_lshrrev_b16 v0, 1, v187
	v_add_f64_e64 v[18:19], v[6:7], -v[26:27]
	v_add_f64_e64 v[6:7], v[8:9], -v[20:21]
	;; [unrolled: 1-line block ×4, first 2 shown]
	v_and_b32_e32 v0, 0x7f, v0
	s_delay_alu instid0(VALU_DEP_1) | instskip(NEXT) | instid1(VALU_DEP_1)
	v_mul_lo_u16 v0, 0xbb, v0
	v_lshrrev_b16 v48, 11, v0
	s_delay_alu instid0(VALU_DEP_1) | instskip(NEXT) | instid1(VALU_DEP_1)
	v_mul_lo_u16 v0, v48, 22
	v_sub_nc_u16 v0, v187, v0
	s_delay_alu instid0(VALU_DEP_1)
	v_and_b32_e32 v49, 0xff, v0
	ds_load_b128 v[0:3], v188 offset:3696
	v_mad_co_u64_u32 v[50:51], null, 0x60, v49, s[10:11]
	v_add_f64_e32 v[74:75], v[4:5], v[24:25]
	v_add_f64_e64 v[16:17], v[4:5], -v[24:25]
	v_add_f64_e64 v[20:21], v[64:65], -v[62:63]
	v_add_f64_e32 v[4:5], v[14:15], v[10:11]
	v_mul_f64_e32 v[218:219], s[28:29], v[8:9]
	s_clause 0x5
	global_load_b128 v[168:171], v[50:51], off offset:320
	global_load_b128 v[172:175], v[50:51], off offset:336
	;; [unrolled: 1-line block ×6, first 2 shown]
	v_add_f64_e64 v[24:25], v[76:77], -v[74:75]
	v_add_f64_e64 v[212:213], v[6:7], -v[16:17]
	v_add_f64_e32 v[214:215], v[4:5], v[18:19]
	v_mul_f64_e32 v[4:5], s[2:3], v[22:23]
	s_delay_alu instid0(VALU_DEP_1) | instskip(SKIP_2) | instid1(VALU_DEP_1)
	v_fma_f64 v[4:5], v[20:21], s[26:27], -v[4:5]
	s_wait_loadcnt_dscnt 0x500
	v_mul_f64_e32 v[30:31], v[2:3], v[170:171]
	v_fma_f64 v[32:33], v[0:1], v[168:169], -v[30:31]
	v_mul_f64_e32 v[0:1], v[0:1], v[170:171]
	s_delay_alu instid0(VALU_DEP_1) | instskip(SKIP_3) | instid1(VALU_DEP_1)
	v_fma_f64 v[30:31], v[2:3], v[168:169], v[0:1]
	ds_load_b128 v[0:3], v188 offset:6160
	s_wait_loadcnt_dscnt 0x400
	v_mul_f64_e32 v[34:35], v[2:3], v[174:175]
	v_fma_f64 v[36:37], v[0:1], v[172:173], -v[34:35]
	v_mul_f64_e32 v[0:1], v[0:1], v[174:175]
	s_delay_alu instid0(VALU_DEP_1) | instskip(SKIP_3) | instid1(VALU_DEP_1)
	v_fma_f64 v[34:35], v[2:3], v[172:173], v[0:1]
	ds_load_b128 v[0:3], v188 offset:8624
	;; [unrolled: 7-line block ×3, first 2 shown]
	s_wait_loadcnt_dscnt 0x200
	v_mul_f64_e32 v[42:43], v[2:3], v[166:167]
	v_fma_f64 v[44:45], v[0:1], v[164:165], -v[42:43]
	v_mul_f64_e32 v[0:1], v[0:1], v[166:167]
	s_delay_alu instid0(VALU_DEP_2) | instskip(NEXT) | instid1(VALU_DEP_2)
	v_add_f64_e32 v[86:87], v[40:41], v[44:45]
	v_fma_f64 v[42:43], v[2:3], v[164:165], v[0:1]
	ds_load_b128 v[0:3], v188 offset:13552
	v_add_f64_e64 v[40:41], v[44:45], -v[40:41]
	s_wait_loadcnt_dscnt 0x100
	v_mul_f64_e32 v[52:53], v[2:3], v[178:179]
	v_add_f64_e32 v[94:95], v[38:39], v[42:43]
	v_add_f64_e64 v[38:39], v[42:43], -v[38:39]
	s_delay_alu instid0(VALU_DEP_3) | instskip(SKIP_1) | instid1(VALU_DEP_2)
	v_fma_f64 v[54:55], v[0:1], v[176:177], -v[52:53]
	v_mul_f64_e32 v[0:1], v[0:1], v[178:179]
	v_add_f64_e32 v[84:85], v[36:37], v[54:55]
	s_delay_alu instid0(VALU_DEP_2)
	v_fma_f64 v[56:57], v[2:3], v[176:177], v[0:1]
	ds_load_b128 v[0:3], v188 offset:16016
	v_add_f64_e64 v[36:37], v[36:37], -v[54:55]
	s_wait_loadcnt_dscnt 0x0
	v_mul_f64_e32 v[50:51], v[2:3], v[186:187]
	v_add_f64_e32 v[92:93], v[34:35], v[56:57]
	s_delay_alu instid0(VALU_DEP_2) | instskip(SKIP_1) | instid1(VALU_DEP_2)
	v_fma_f64 v[58:59], v[0:1], v[184:185], -v[50:51]
	v_mul_f64_e32 v[0:1], v[0:1], v[186:187]
	v_add_f64_e32 v[82:83], v[32:33], v[58:59]
	s_delay_alu instid0(VALU_DEP_2)
	v_fma_f64 v[60:61], v[2:3], v[184:185], v[0:1]
	v_add_f64_e32 v[0:1], v[64:65], v[62:63]
	v_add_f64_e64 v[64:65], v[10:11], -v[18:19]
	v_add_f64_e64 v[62:63], v[62:63], -v[66:67]
	v_add_f64_e32 v[10:11], v[12:13], v[6:7]
	v_add_f64_e64 v[44:45], v[32:33], -v[58:59]
	v_add_f64_e64 v[32:33], v[34:35], -v[56:57]
	;; [unrolled: 1-line block ×4, first 2 shown]
	v_add_f64_e32 v[50:51], v[84:85], v[82:83]
	v_add_f64_e32 v[90:91], v[30:31], v[60:61]
	;; [unrolled: 1-line block ×4, first 2 shown]
	v_add_f64_e64 v[66:67], v[74:75], -v[78:79]
	v_add_f64_e64 v[76:77], v[12:13], -v[6:7]
	v_fma_f64 v[8:9], v[64:65], s[14:15], -v[218:219]
	v_add_f64_e64 v[74:75], v[18:19], -v[14:15]
	v_mul_f64_e32 v[14:15], s[14:15], v[212:213]
	v_mul_f64_e32 v[62:63], s[18:19], v[62:63]
	v_add_f64_e32 v[216:217], v[10:11], v[16:17]
	v_mul_f64_e32 v[6:7], s[2:3], v[26:27]
	v_add_f64_e64 v[42:43], v[30:31], -v[60:61]
	v_add_f64_e32 v[30:31], v[40:41], v[36:37]
	v_add_f64_e64 v[54:55], v[84:85], -v[82:83]
	v_add_f64_e64 v[60:61], v[94:95], -v[92:93]
	;; [unrolled: 1-line block ×3, first 2 shown]
	v_add_f64_e32 v[88:89], v[86:87], v[50:51]
	v_add_f64_e32 v[50:51], v[92:93], v[90:91]
	v_add_f64_e64 v[58:59], v[92:93], -v[90:91]
	v_add_f64_e32 v[80:81], v[78:79], v[0:1]
	ds_load_b128 v[0:3], v188
	v_add_f64_e64 v[78:79], v[16:17], -v[12:13]
	v_mul_f64_e32 v[12:13], s[14:15], v[64:65]
	v_mul_f64_e32 v[64:65], s[18:19], v[66:67]
	;; [unrolled: 1-line block ×3, first 2 shown]
	s_wait_alu 0xfffe
	v_fma_f64 v[16:17], v[20:21], s[20:21], -v[62:63]
	v_fma_f64 v[22:23], v[22:23], s[2:3], v[62:63]
	v_fma_f64 v[6:7], v[24:25], s[26:27], -v[6:7]
	v_fma_f64 v[10:11], v[214:215], s[12:13], v[8:9]
	v_add_f64_e64 v[66:67], v[32:33], -v[42:43]
	v_add_f64_e64 v[86:87], v[44:45], -v[40:41]
	v_add_f64_e32 v[181:182], v[94:95], v[50:51]
	ds_load_b128 v[50:53], v188 offset:1232
	s_wait_dscnt 0x1
	v_add_f64_e32 v[0:1], v[0:1], v[72:73]
	v_add_f64_e32 v[2:3], v[2:3], v[80:81]
	v_fma_f64 v[14:15], v[78:79], s[22:23], -v[14:15]
	v_fma_f64 v[12:13], v[74:75], s[22:23], -v[12:13]
	;; [unrolled: 1-line block ×3, first 2 shown]
	v_fma_f64 v[26:27], v[26:27], s[2:3], v[64:65]
	v_fma_f64 v[8:9], v[212:213], s[14:15], -v[76:77]
	global_wb scope:SCOPE_SE
	s_wait_dscnt 0x0
	s_barrier_signal -1
	s_barrier_wait -1
	v_mul_f64_e32 v[40:41], s[14:15], v[66:67]
	global_inv scope:SCOPE_SE
	v_add_f64_e32 v[50:51], v[50:51], v[88:89]
	v_add_f64_e32 v[52:53], v[52:53], v[181:182]
	v_fma_f64 v[72:73], v[72:73], s[24:25], v[0:1]
	v_fma_f64 v[80:81], v[80:81], s[24:25], v[2:3]
	;; [unrolled: 1-line block ×5, first 2 shown]
	v_add_f64_e32 v[16:17], v[16:17], v[72:73]
	v_add_f64_e32 v[18:19], v[18:19], v[80:81]
	;; [unrolled: 1-line block ×6, first 2 shown]
	v_mul_f64_e32 v[30:31], s[2:3], v[56:57]
	v_add_f64_e32 v[222:223], v[6:7], v[80:81]
	v_fma_f64 v[80:81], v[181:182], s[24:25], v[52:53]
	v_lshl_add_u32 v181, v28, 4, v203
	v_add_f64_e32 v[12:13], v[24:25], v[16:17]
	v_add_f64_e64 v[14:15], v[18:19], -v[20:21]
	v_add_f64_e64 v[16:17], v[16:17], -v[24:25]
	v_add_f64_e32 v[18:19], v[20:21], v[18:19]
	v_fma_f64 v[20:21], v[74:75], s[16:17], v[218:219]
	v_fma_f64 v[24:25], v[78:79], s[16:17], v[76:77]
	v_mul_f64_e32 v[76:77], s[28:29], v[34:35]
	v_fma_f64 v[30:31], v[54:55], s[26:27], -v[30:31]
	v_fma_f64 v[78:79], v[88:89], s[24:25], v[50:51]
	v_add_f64_e64 v[4:5], v[220:221], -v[8:9]
	v_add_f64_e32 v[6:7], v[10:11], v[222:223]
	v_add_f64_e32 v[8:9], v[8:9], v[220:221]
	v_add_f64_e64 v[10:11], v[222:223], -v[10:11]
	v_fma_f64 v[62:63], v[214:215], s[12:13], v[20:21]
	v_fma_f64 v[24:25], v[216:217], s[12:13], v[24:25]
	v_add_f64_e32 v[84:85], v[30:31], v[78:79]
	s_delay_alu instid0(VALU_DEP_3) | instskip(NEXT) | instid1(VALU_DEP_3)
	v_add_f64_e64 v[22:23], v[26:27], -v[62:63]
	v_add_f64_e32 v[20:21], v[24:25], v[64:65]
	v_add_f64_e64 v[24:25], v[64:65], -v[24:25]
	v_add_f64_e32 v[26:27], v[62:63], v[26:27]
	v_add_f64_e64 v[62:63], v[36:37], -v[44:45]
	v_add_f64_e64 v[64:65], v[38:39], -v[32:33]
	v_add_f64_e32 v[36:37], v[38:39], v[32:33]
	v_mul_f64_e32 v[32:33], s[2:3], v[60:61]
	ds_store_b128 v181, v[0:3]
	ds_store_b128 v181, v[20:23] offset:352
	ds_store_b128 v181, v[12:15] offset:704
	;; [unrolled: 1-line block ×6, first 2 shown]
	v_and_b32_e32 v0, 0xffff, v48
	v_mad_co_u64_u32 v[8:9], null, 0x60, v202, s[10:11]
	v_fma_f64 v[34:35], v[62:63], s[14:15], -v[76:77]
	v_mul_f64_e32 v[64:65], s[28:29], v[64:65]
	v_add_f64_e32 v[74:75], v[36:37], v[42:43]
	v_fma_f64 v[32:33], v[58:59], s[26:27], -v[32:33]
	v_mul_u32_u24_e32 v0, 0x9a, v0
	s_delay_alu instid0(VALU_DEP_1) | instskip(NEXT) | instid1(VALU_DEP_1)
	v_add_nc_u32_e32 v0, v0, v49
	v_lshl_add_u32 v182, v0, 4, v203
	v_fma_f64 v[36:37], v[72:73], s[12:13], v[34:35]
	v_fma_f64 v[34:35], v[66:67], s[14:15], -v[64:65]
	v_add_f64_e32 v[88:89], v[32:33], v[80:81]
	s_delay_alu instid0(VALU_DEP_2) | instskip(NEXT) | instid1(VALU_DEP_2)
	v_fma_f64 v[34:35], v[74:75], s[12:13], v[34:35]
	v_add_f64_e32 v[32:33], v[36:37], v[88:89]
	v_add_f64_e64 v[36:37], v[88:89], -v[36:37]
	v_add_f64_e64 v[88:89], v[42:43], -v[38:39]
	v_mul_f64_e32 v[38:39], s[14:15], v[62:63]
	v_mul_f64_e32 v[62:63], s[18:19], v[82:83]
	v_add_f64_e64 v[30:31], v[84:85], -v[34:35]
	v_add_f64_e32 v[34:35], v[34:35], v[84:85]
	v_add_f64_e64 v[84:85], v[90:91], -v[94:95]
	v_fma_f64 v[40:41], v[88:89], s[22:23], -v[40:41]
	v_fma_f64 v[38:39], v[86:87], s[22:23], -v[38:39]
	;; [unrolled: 1-line block ×3, first 2 shown]
	v_fma_f64 v[56:57], v[56:57], s[2:3], v[62:63]
	v_mul_f64_e32 v[66:67], s[18:19], v[84:85]
	s_delay_alu instid0(VALU_DEP_4) | instskip(NEXT) | instid1(VALU_DEP_4)
	v_fma_f64 v[54:55], v[72:73], s[12:13], v[38:39]
	v_add_f64_e32 v[42:43], v[42:43], v[78:79]
	s_delay_alu instid0(VALU_DEP_3) | instskip(SKIP_2) | instid1(VALU_DEP_3)
	v_fma_f64 v[44:45], v[58:59], s[20:21], -v[66:67]
	v_fma_f64 v[58:59], v[74:75], s[12:13], v[40:41]
	v_fma_f64 v[60:61], v[60:61], s[2:3], v[66:67]
	v_add_f64_e32 v[44:45], v[44:45], v[80:81]
	s_delay_alu instid0(VALU_DEP_3)
	v_add_f64_e32 v[38:39], v[58:59], v[42:43]
	v_add_f64_e64 v[42:43], v[42:43], -v[58:59]
	v_fma_f64 v[58:59], v[88:89], s[16:17], v[64:65]
	v_add_f64_e32 v[64:65], v[56:57], v[78:79]
	v_add_f64_e32 v[60:61], v[60:61], v[80:81]
	v_add_f64_e64 v[40:41], v[44:45], -v[54:55]
	v_add_f64_e32 v[44:45], v[54:55], v[44:45]
	v_fma_f64 v[54:55], v[86:87], s[16:17], v[76:77]
	v_fma_f64 v[58:59], v[74:75], s[12:13], v[58:59]
	s_delay_alu instid0(VALU_DEP_2) | instskip(NEXT) | instid1(VALU_DEP_2)
	v_fma_f64 v[62:63], v[72:73], s[12:13], v[54:55]
	v_add_f64_e32 v[54:55], v[58:59], v[64:65]
	v_add_f64_e64 v[58:59], v[64:65], -v[58:59]
	s_delay_alu instid0(VALU_DEP_3)
	v_add_f64_e64 v[56:57], v[60:61], -v[62:63]
	v_add_f64_e32 v[60:61], v[62:63], v[60:61]
	ds_store_b128 v182, v[50:53]
	ds_store_b128 v182, v[54:57] offset:352
	ds_store_b128 v182, v[38:41] offset:704
	;; [unrolled: 1-line block ×6, first 2 shown]
	global_wb scope:SCOPE_SE
	s_wait_dscnt 0x0
	s_barrier_signal -1
	s_barrier_wait -1
	global_inv scope:SCOPE_SE
	s_clause 0x3
	global_load_b128 v[220:223], v[8:9], off offset:2432
	global_load_b128 v[228:231], v[8:9], off offset:2448
	;; [unrolled: 1-line block ×4, first 2 shown]
	ds_load_b128 v[0:3], v188 offset:2464
	s_clause 0x5
	global_load_b128 v[232:235], v[8:9], off offset:2496
	global_load_b128 v[236:239], v[8:9], off offset:2512
	;; [unrolled: 1-line block ×6, first 2 shown]
	s_wait_loadcnt_dscnt 0x900
	v_mul_f64_e32 v[4:5], v[2:3], v[222:223]
	s_delay_alu instid0(VALU_DEP_1) | instskip(SKIP_1) | instid1(VALU_DEP_1)
	v_fma_f64 v[14:15], v[0:1], v[220:221], -v[4:5]
	v_mul_f64_e32 v[0:1], v[0:1], v[222:223]
	v_fma_f64 v[12:13], v[2:3], v[220:221], v[0:1]
	ds_load_b128 v[0:3], v188 offset:4928
	s_wait_loadcnt_dscnt 0x800
	v_mul_f64_e32 v[4:5], v[2:3], v[230:231]
	s_delay_alu instid0(VALU_DEP_1) | instskip(SKIP_1) | instid1(VALU_DEP_1)
	v_fma_f64 v[18:19], v[0:1], v[228:229], -v[4:5]
	v_mul_f64_e32 v[0:1], v[0:1], v[230:231]
	v_fma_f64 v[16:17], v[2:3], v[228:229], v[0:1]
	ds_load_b128 v[0:3], v188 offset:7392
	;; [unrolled: 7-line block ×3, first 2 shown]
	s_wait_loadcnt_dscnt 0x600
	v_mul_f64_e32 v[4:5], v[2:3], v[218:219]
	s_delay_alu instid0(VALU_DEP_1) | instskip(SKIP_1) | instid1(VALU_DEP_2)
	v_fma_f64 v[26:27], v[0:1], v[216:217], -v[4:5]
	v_mul_f64_e32 v[0:1], v[0:1], v[218:219]
	v_add_f64_e32 v[74:75], v[22:23], v[26:27]
	s_delay_alu instid0(VALU_DEP_2)
	v_fma_f64 v[24:25], v[2:3], v[216:217], v[0:1]
	ds_load_b128 v[0:3], v188 offset:12320
	v_add_f64_e64 v[22:23], v[26:27], -v[22:23]
	s_wait_loadcnt_dscnt 0x500
	v_mul_f64_e32 v[4:5], v[2:3], v[234:235]
	v_add_f64_e32 v[82:83], v[20:21], v[24:25]
	v_add_f64_e64 v[20:21], v[24:25], -v[20:21]
	s_delay_alu instid0(VALU_DEP_3) | instskip(SKIP_1) | instid1(VALU_DEP_2)
	v_fma_f64 v[34:35], v[0:1], v[232:233], -v[4:5]
	v_mul_f64_e32 v[0:1], v[0:1], v[234:235]
	v_add_f64_e32 v[72:73], v[18:19], v[34:35]
	s_delay_alu instid0(VALU_DEP_2)
	v_fma_f64 v[36:37], v[2:3], v[232:233], v[0:1]
	ds_load_b128 v[0:3], v188 offset:14784
	v_add_f64_e64 v[18:19], v[18:19], -v[34:35]
	s_wait_loadcnt_dscnt 0x400
	v_mul_f64_e32 v[4:5], v[2:3], v[238:239]
	v_add_f64_e32 v[80:81], v[16:17], v[36:37]
	s_delay_alu instid0(VALU_DEP_2) | instskip(SKIP_1) | instid1(VALU_DEP_2)
	v_fma_f64 v[38:39], v[0:1], v[236:237], -v[4:5]
	v_mul_f64_e32 v[0:1], v[0:1], v[238:239]
	v_add_f64_e32 v[66:67], v[14:15], v[38:39]
	s_delay_alu instid0(VALU_DEP_2)
	v_fma_f64 v[40:41], v[2:3], v[236:237], v[0:1]
	ds_load_b128 v[0:3], v188 offset:3696
	v_add_f64_e64 v[26:27], v[14:15], -v[38:39]
	v_add_f64_e64 v[14:15], v[16:17], -v[36:37]
	;; [unrolled: 1-line block ×4, first 2 shown]
	s_wait_loadcnt_dscnt 0x300
	v_mul_f64_e32 v[4:5], v[2:3], v[250:251]
	v_add_f64_e64 v[34:35], v[72:73], -v[66:67]
	v_add_f64_e32 v[78:79], v[12:13], v[40:41]
	v_add_f64_e64 v[24:25], v[12:13], -v[40:41]
	v_add_f64_e64 v[40:41], v[82:83], -v[80:81]
	;; [unrolled: 1-line block ×3, first 2 shown]
	v_mul_f64_e32 v[196:197], s[28:29], v[16:17]
	v_add_f64_e32 v[12:13], v[22:23], v[18:19]
	v_add_f64_e32 v[18:19], v[20:21], v[14:15]
	v_fma_f64 v[42:43], v[0:1], v[248:249], -v[4:5]
	v_mul_f64_e32 v[0:1], v[0:1], v[250:251]
	v_add_f64_e64 v[38:39], v[80:81], -v[78:79]
	v_fma_f64 v[16:17], v[70:71], s[14:15], -v[196:197]
	v_add_f64_e32 v[192:193], v[12:13], v[26:27]
	v_add_f64_e32 v[194:195], v[18:19], v[24:25]
	v_mul_f64_e32 v[12:13], s[2:3], v[36:37]
	v_fma_f64 v[44:45], v[2:3], v[248:249], v[0:1]
	ds_load_b128 v[0:3], v188 offset:6160
	s_wait_loadcnt_dscnt 0x200
	v_mul_f64_e32 v[4:5], v[2:3], v[254:255]
	v_fma_f64 v[18:19], v[192:193], s[12:13], v[16:17]
	v_fma_f64 v[12:13], v[34:35], s[26:27], -v[12:13]
	s_delay_alu instid0(VALU_DEP_3) | instskip(SKIP_1) | instid1(VALU_DEP_1)
	v_fma_f64 v[46:47], v[0:1], v[252:253], -v[4:5]
	v_mul_f64_e32 v[0:1], v[0:1], v[254:255]
	v_fma_f64 v[48:49], v[2:3], v[252:253], v[0:1]
	ds_load_b128 v[0:3], v188 offset:8624
	s_wait_loadcnt_dscnt 0x100
	v_mul_f64_e32 v[4:5], v[2:3], v[242:243]
	s_delay_alu instid0(VALU_DEP_1) | instskip(SKIP_1) | instid1(VALU_DEP_1)
	v_fma_f64 v[50:51], v[0:1], v[240:241], -v[4:5]
	v_mul_f64_e32 v[0:1], v[0:1], v[242:243]
	v_fma_f64 v[52:53], v[2:3], v[240:241], v[0:1]
	ds_load_b128 v[0:3], v188 offset:11088
	s_wait_loadcnt_dscnt 0x0
	v_mul_f64_e32 v[4:5], v[2:3], v[246:247]
	s_delay_alu instid0(VALU_DEP_1)
	v_fma_f64 v[54:55], v[0:1], v[244:245], -v[4:5]
	v_mul_f64_e32 v[0:1], v[0:1], v[246:247]
	ds_load_b128 v[4:7], v188 offset:13552
	v_add_f64_e32 v[90:91], v[50:51], v[54:55]
	v_fma_f64 v[56:57], v[2:3], v[244:245], v[0:1]
	global_load_b128 v[0:3], v[8:9], off offset:9888
	v_add_f64_e64 v[50:51], v[54:55], -v[50:51]
	v_add_f64_e32 v[28:29], v[52:53], v[56:57]
	v_add_f64_e64 v[52:53], v[56:57], -v[52:53]
	s_wait_loadcnt_dscnt 0x0
	v_mul_f64_e32 v[10:11], v[6:7], v[2:3]
	s_delay_alu instid0(VALU_DEP_1) | instskip(SKIP_1) | instid1(VALU_DEP_2)
	v_fma_f64 v[58:59], v[4:5], v[0:1], -v[10:11]
	v_mul_f64_e32 v[4:5], v[4:5], v[2:3]
	v_add_f64_e32 v[88:89], v[46:47], v[58:59]
	s_delay_alu instid0(VALU_DEP_2)
	v_fma_f64 v[60:61], v[6:7], v[0:1], v[4:5]
	global_load_b128 v[4:7], v[8:9], off offset:9904
	ds_load_b128 v[8:11], v188 offset:16016
	v_add_f64_e64 v[46:47], v[46:47], -v[58:59]
	v_add_f64_e32 v[189:190], v[48:49], v[60:61]
	s_wait_loadcnt_dscnt 0x0
	v_mul_f64_e32 v[30:31], v[10:11], v[6:7]
	s_delay_alu instid0(VALU_DEP_1) | instskip(SKIP_1) | instid1(VALU_DEP_2)
	v_fma_f64 v[62:63], v[8:9], v[4:5], -v[30:31]
	v_mul_f64_e32 v[8:9], v[8:9], v[6:7]
	v_add_f64_e32 v[86:87], v[42:43], v[62:63]
	s_delay_alu instid0(VALU_DEP_2)
	v_fma_f64 v[64:65], v[10:11], v[4:5], v[8:9]
	v_add_f64_e32 v[8:9], v[72:73], v[66:67]
	v_add_f64_e64 v[66:67], v[66:67], -v[74:75]
	v_add_f64_e64 v[72:73], v[20:21], -v[14:15]
	;; [unrolled: 1-line block ×6, first 2 shown]
	v_add_f64_e32 v[30:31], v[88:89], v[86:87]
	v_add_f64_e32 v[94:95], v[44:45], v[64:65]
	;; [unrolled: 1-line block ×4, first 2 shown]
	v_add_f64_e64 v[80:81], v[14:15], -v[24:25]
	v_add_f64_e64 v[74:75], v[78:79], -v[82:83]
	v_add_f64_e64 v[78:79], v[26:27], -v[22:23]
	v_mul_f64_e32 v[66:67], s[18:19], v[66:67]
	v_mul_f64_e32 v[14:15], s[2:3], v[40:41]
	;; [unrolled: 1-line block ×3, first 2 shown]
	v_add_f64_e64 v[56:57], v[44:45], -v[64:65]
	v_add_f64_e32 v[44:45], v[50:51], v[46:47]
	v_add_f64_e64 v[58:59], v[88:89], -v[86:87]
	v_add_f64_e64 v[64:65], v[28:29], -v[189:190]
	v_add_f64_e32 v[92:93], v[90:91], v[30:31]
	v_add_f64_e32 v[30:31], v[189:190], v[94:95]
	v_add_f64_e64 v[62:63], v[189:190], -v[94:95]
	v_add_f64_e32 v[84:85], v[82:83], v[8:9]
	ds_load_b128 v[8:11], v188
	v_add_f64_e64 v[82:83], v[24:25], -v[20:21]
	v_mul_f64_e32 v[20:21], s[14:15], v[70:71]
	v_mul_f64_e32 v[22:23], s[14:15], v[80:81]
	;; [unrolled: 1-line block ×3, first 2 shown]
	v_fma_f64 v[24:25], v[34:35], s[20:21], -v[66:67]
	v_fma_f64 v[14:15], v[38:39], s[26:27], -v[14:15]
	v_fma_f64 v[36:37], v[36:37], s[2:3], v[66:67]
	v_fma_f64 v[16:17], v[80:81], s[14:15], -v[72:73]
	v_add_f64_e32 v[74:75], v[44:45], v[54:55]
	v_mul_f64_e32 v[44:45], s[2:3], v[64:65]
	v_add_f64_e32 v[68:69], v[28:29], v[30:31]
	ds_load_b128 v[30:33], v188 offset:1232
	s_wait_dscnt 0x1
	v_add_f64_e32 v[8:9], v[8:9], v[76:77]
	v_add_f64_e32 v[10:11], v[10:11], v[84:85]
	v_add_f64_e64 v[28:29], v[94:95], -v[28:29]
	v_fma_f64 v[20:21], v[78:79], s[22:23], -v[20:21]
	v_fma_f64 v[22:23], v[82:83], s[22:23], -v[22:23]
	;; [unrolled: 1-line block ×3, first 2 shown]
	v_fma_f64 v[40:41], v[40:41], s[2:3], v[70:71]
	v_fma_f64 v[16:17], v[194:195], s[12:13], v[16:17]
	v_fma_f64 v[44:45], v[62:63], s[26:27], -v[44:45]
	s_wait_dscnt 0x0
	v_add_f64_e32 v[30:31], v[30:31], v[92:93]
	v_add_f64_e32 v[32:33], v[32:33], v[68:69]
	v_fma_f64 v[76:77], v[76:77], s[24:25], v[8:9]
	v_fma_f64 v[84:85], v[84:85], s[24:25], v[10:11]
	v_mul_f64_e32 v[28:29], s[18:19], v[28:29]
	v_fma_f64 v[34:35], v[192:193], s[12:13], v[20:21]
	v_fma_f64 v[38:39], v[194:195], s[12:13], v[22:23]
	;; [unrolled: 1-line block ×4, first 2 shown]
	v_add_f64_e32 v[24:25], v[24:25], v[76:77]
	v_add_f64_e32 v[26:27], v[26:27], v[84:85]
	v_add_f64_e32 v[70:71], v[36:37], v[76:77]
	v_add_f64_e32 v[40:41], v[40:41], v[84:85]
	v_add_f64_e32 v[198:199], v[12:13], v[76:77]
	v_add_f64_e32 v[200:201], v[14:15], v[84:85]
	v_add_f64_e32 v[84:85], v[44:45], v[68:69]
	v_add_f64_e32 v[20:21], v[38:39], v[24:25]
	v_add_f64_e64 v[22:23], v[26:27], -v[34:35]
	v_add_f64_e64 v[24:25], v[24:25], -v[38:39]
	v_add_f64_e32 v[26:27], v[34:35], v[26:27]
	v_fma_f64 v[34:35], v[78:79], s[16:17], v[196:197]
	v_fma_f64 v[38:39], v[82:83], s[16:17], v[72:73]
	v_mul_f64_e32 v[78:79], s[28:29], v[48:49]
	v_add_f64_e64 v[72:73], v[42:43], -v[56:57]
	v_add_f64_e64 v[12:13], v[198:199], -v[16:17]
	v_add_f64_e32 v[14:15], v[18:19], v[200:201]
	v_add_f64_e32 v[16:17], v[16:17], v[198:199]
	v_add_f64_e64 v[18:19], v[200:201], -v[18:19]
	v_fma_f64 v[66:67], v[192:193], s[12:13], v[34:35]
	v_fma_f64 v[38:39], v[194:195], s[12:13], v[38:39]
	s_delay_alu instid0(VALU_DEP_2) | instskip(NEXT) | instid1(VALU_DEP_2)
	v_add_f64_e64 v[36:37], v[40:41], -v[66:67]
	v_add_f64_e32 v[34:35], v[38:39], v[70:71]
	v_add_f64_e64 v[38:39], v[70:71], -v[38:39]
	v_add_f64_e32 v[40:41], v[66:67], v[40:41]
	;; [unrolled: 2-line block ×3, first 2 shown]
	v_add_f64_e64 v[70:71], v[52:53], -v[42:43]
	v_mul_f64_e32 v[42:43], s[2:3], v[60:61]
	ds_store_b128 v188, v[8:11]
	ds_store_b128 v188, v[34:37] offset:2464
	ds_store_b128 v188, v[20:23] offset:4928
	;; [unrolled: 1-line block ×3, first 2 shown]
	v_add_f64_e32 v[76:77], v[46:47], v[56:57]
	v_mul_f64_e32 v[70:71], s[28:29], v[70:71]
	v_fma_f64 v[46:47], v[66:67], s[14:15], -v[78:79]
	v_fma_f64 v[42:43], v[58:59], s[26:27], -v[42:43]
	s_delay_alu instid0(VALU_DEP_2) | instskip(NEXT) | instid1(VALU_DEP_4)
	v_fma_f64 v[48:49], v[74:75], s[12:13], v[46:47]
	v_fma_f64 v[46:47], v[72:73], s[14:15], -v[70:71]
	s_delay_alu instid0(VALU_DEP_3) | instskip(NEXT) | instid1(VALU_DEP_3)
	v_add_f64_e32 v[82:83], v[42:43], v[80:81]
	v_add_f64_e32 v[44:45], v[48:49], v[84:85]
	s_delay_alu instid0(VALU_DEP_3) | instskip(SKIP_3) | instid1(VALU_DEP_4)
	v_fma_f64 v[46:47], v[76:77], s[12:13], v[46:47]
	v_add_f64_e64 v[48:49], v[84:85], -v[48:49]
	v_add_f64_e64 v[84:85], v[54:55], -v[50:51]
	v_mul_f64_e32 v[50:51], s[14:15], v[66:67]
	v_add_f64_e64 v[42:43], v[82:83], -v[46:47]
	v_add_f64_e32 v[46:47], v[46:47], v[82:83]
	v_add_f64_e64 v[82:83], v[86:87], -v[90:91]
	v_add_f64_e64 v[86:87], v[56:57], -v[52:53]
	v_mul_f64_e32 v[52:53], s[14:15], v[72:73]
	v_fma_f64 v[50:51], v[84:85], s[22:23], -v[50:51]
	v_fma_f64 v[56:57], v[62:63], s[20:21], -v[28:29]
	v_fma_f64 v[28:29], v[64:65], s[2:3], v[28:29]
	v_mul_f64_e32 v[66:67], s[18:19], v[82:83]
	v_fma_f64 v[52:53], v[86:87], s[22:23], -v[52:53]
	s_delay_alu instid0(VALU_DEP_4) | instskip(NEXT) | instid1(VALU_DEP_4)
	v_add_f64_e32 v[56:57], v[56:57], v[68:69]
	v_add_f64_e32 v[28:29], v[28:29], v[68:69]
	s_delay_alu instid0(VALU_DEP_4) | instskip(SKIP_4) | instid1(VALU_DEP_4)
	v_fma_f64 v[54:55], v[58:59], s[20:21], -v[66:67]
	v_fma_f64 v[58:59], v[74:75], s[12:13], v[50:51]
	v_fma_f64 v[62:63], v[76:77], s[12:13], v[52:53]
	;; [unrolled: 1-line block ×3, first 2 shown]
	s_add_nc_u64 s[2:3], s[8:9], 0x4360
	v_add_f64_e32 v[54:55], v[54:55], v[80:81]
	s_delay_alu instid0(VALU_DEP_4)
	v_add_f64_e64 v[52:53], v[56:57], -v[58:59]
	v_add_f64_e32 v[56:57], v[58:59], v[56:57]
	v_fma_f64 v[58:59], v[84:85], s[16:17], v[78:79]
	v_add_f64_e32 v[66:67], v[60:61], v[80:81]
	v_add_f64_e32 v[50:51], v[62:63], v[54:55]
	v_add_f64_e64 v[54:55], v[54:55], -v[62:63]
	v_fma_f64 v[62:63], v[86:87], s[16:17], v[70:71]
	v_fma_f64 v[64:65], v[74:75], s[12:13], v[58:59]
	s_delay_alu instid0(VALU_DEP_2) | instskip(NEXT) | instid1(VALU_DEP_2)
	v_fma_f64 v[62:63], v[76:77], s[12:13], v[62:63]
	v_add_f64_e64 v[60:61], v[28:29], -v[64:65]
	v_add_f64_e32 v[74:75], v[64:65], v[28:29]
	v_lshlrev_b32_e32 v64, 4, v202
	s_delay_alu instid0(VALU_DEP_4)
	v_add_f64_e32 v[58:59], v[62:63], v[66:67]
	v_add_f64_e64 v[72:73], v[66:67], -v[62:63]
	ds_store_b128 v183, v[16:19] offset:9856
	ds_store_b128 v183, v[24:27] offset:12320
	;; [unrolled: 1-line block ×10, first 2 shown]
	global_wb scope:SCOPE_SE
	s_wait_dscnt 0x0
	s_barrier_signal -1
	s_barrier_wait -1
	global_inv scope:SCOPE_SE
	scratch_load_b64 v[8:9], off, off offset:332 th:TH_LOAD_LU ; 8-byte Folded Reload
	ds_load_b128 v[14:17], v188
	ds_load_b128 v[22:25], v188 offset:1232
	ds_load_b128 v[18:21], v188 offset:8624
	;; [unrolled: 1-line block ×8, first 2 shown]
	global_load_b128 v[72:75], v64, s[2:3] offset:6160
	ds_load_b128 v[36:39], v188 offset:11088
	ds_load_b128 v[42:45], v188 offset:3696
	s_wait_loadcnt 0x1
	global_load_b128 v[10:13], v[8:9], off offset:17248
	s_wait_loadcnt_dscnt 0xa
	v_mul_f64_e32 v[8:9], v[16:17], v[12:13]
	v_mul_f64_e32 v[12:13], v[14:15], v[12:13]
	s_delay_alu instid0(VALU_DEP_2) | instskip(NEXT) | instid1(VALU_DEP_2)
	v_fma_f64 v[8:9], v[14:15], v[10:11], -v[8:9]
	v_fma_f64 v[10:11], v[16:17], v[10:11], v[12:13]
	global_load_b128 v[14:17], v64, s[2:3] offset:8624
	s_wait_loadcnt_dscnt 0x8
	v_mul_f64_e32 v[12:13], v[20:21], v[16:17]
	v_mul_f64_e32 v[16:17], v[18:19], v[16:17]
	s_delay_alu instid0(VALU_DEP_2) | instskip(NEXT) | instid1(VALU_DEP_2)
	v_fma_f64 v[12:13], v[18:19], v[14:15], -v[12:13]
	v_fma_f64 v[14:15], v[20:21], v[14:15], v[16:17]
	global_load_b128 v[18:21], v64, s[2:3] offset:1232
	s_wait_loadcnt 0x0
	v_mul_f64_e32 v[16:17], v[24:25], v[20:21]
	v_mul_f64_e32 v[20:21], v[22:23], v[20:21]
	s_delay_alu instid0(VALU_DEP_2) | instskip(NEXT) | instid1(VALU_DEP_2)
	v_fma_f64 v[16:17], v[22:23], v[18:19], -v[16:17]
	v_fma_f64 v[18:19], v[24:25], v[18:19], v[20:21]
	global_load_b128 v[20:23], v64, s[2:3] offset:9856
	ds_load_b128 v[24:27], v188 offset:9856
	s_wait_loadcnt_dscnt 0x0
	v_mul_f64_e32 v[28:29], v[26:27], v[22:23]
	v_mul_f64_e32 v[30:31], v[24:25], v[22:23]
	s_delay_alu instid0(VALU_DEP_2) | instskip(NEXT) | instid1(VALU_DEP_2)
	v_fma_f64 v[22:23], v[24:25], v[20:21], -v[28:29]
	v_fma_f64 v[24:25], v[26:27], v[20:21], v[30:31]
	global_load_b128 v[26:29], v64, s[2:3] offset:2464
	ds_load_b128 v[30:33], v188 offset:2464
	s_wait_loadcnt_dscnt 0x0
	v_mul_f64_e32 v[20:21], v[32:33], v[28:29]
	v_mul_f64_e32 v[34:35], v[30:31], v[28:29]
	s_delay_alu instid0(VALU_DEP_2) | instskip(NEXT) | instid1(VALU_DEP_2)
	v_fma_f64 v[28:29], v[30:31], v[26:27], -v[20:21]
	v_fma_f64 v[30:31], v[32:33], v[26:27], v[34:35]
	global_load_b128 v[32:35], v64, s[2:3] offset:11088
	s_wait_loadcnt 0x0
	v_mul_f64_e32 v[20:21], v[38:39], v[34:35]
	v_mul_f64_e32 v[26:27], v[36:37], v[34:35]
	s_delay_alu instid0(VALU_DEP_2) | instskip(NEXT) | instid1(VALU_DEP_2)
	v_fma_f64 v[34:35], v[36:37], v[32:33], -v[20:21]
	v_fma_f64 v[36:37], v[38:39], v[32:33], v[26:27]
	global_load_b128 v[38:41], v64, s[2:3] offset:3696
	s_wait_loadcnt 0x0
	;; [unrolled: 7-line block ×5, first 2 shown]
	v_mul_f64_e32 v[20:21], v[62:63], v[58:59]
	v_mul_f64_e32 v[26:27], v[60:61], v[58:59]
	s_delay_alu instid0(VALU_DEP_2) | instskip(NEXT) | instid1(VALU_DEP_2)
	v_fma_f64 v[58:59], v[60:61], v[56:57], -v[20:21]
	v_fma_f64 v[60:61], v[62:63], v[56:57], v[26:27]
	v_mul_f64_e32 v[20:21], v[78:79], v[74:75]
	v_mul_f64_e32 v[26:27], v[76:77], v[74:75]
	s_delay_alu instid0(VALU_DEP_2) | instskip(NEXT) | instid1(VALU_DEP_2)
	v_fma_f64 v[74:75], v[76:77], v[72:73], -v[20:21]
	v_fma_f64 v[76:77], v[78:79], v[72:73], v[26:27]
	global_load_b128 v[78:81], v64, s[2:3] offset:14784
	s_wait_loadcnt 0x0
	v_mul_f64_e32 v[20:21], v[84:85], v[80:81]
	v_mul_f64_e32 v[26:27], v[82:83], v[80:81]
	s_delay_alu instid0(VALU_DEP_2) | instskip(NEXT) | instid1(VALU_DEP_2)
	v_fma_f64 v[80:81], v[82:83], v[78:79], -v[20:21]
	v_fma_f64 v[82:83], v[84:85], v[78:79], v[26:27]
	global_load_b128 v[84:87], v64, s[2:3] offset:7392
	s_wait_loadcnt 0x0
	v_mul_f64_e32 v[20:21], v[90:91], v[86:87]
	v_mul_f64_e32 v[26:27], v[88:89], v[86:87]
	s_delay_alu instid0(VALU_DEP_2) | instskip(NEXT) | instid1(VALU_DEP_2)
	v_fma_f64 v[86:87], v[88:89], v[84:85], -v[20:21]
	v_fma_f64 v[88:89], v[90:91], v[84:85], v[26:27]
	global_load_b128 v[90:93], v64, s[2:3] offset:16016
	ds_load_b128 v[62:65], v188 offset:16016
	s_wait_loadcnt_dscnt 0x0
	v_mul_f64_e32 v[20:21], v[64:65], v[92:93]
	v_mul_f64_e32 v[26:27], v[62:63], v[92:93]
	s_delay_alu instid0(VALU_DEP_2) | instskip(NEXT) | instid1(VALU_DEP_2)
	v_fma_f64 v[62:63], v[62:63], v[90:91], -v[20:21]
	v_fma_f64 v[64:65], v[64:65], v[90:91], v[26:27]
	ds_store_b128 v188, v[8:11]
	ds_store_b128 v188, v[12:15] offset:8624
	ds_store_b128 v188, v[16:19] offset:1232
	;; [unrolled: 1-line block ×13, first 2 shown]
	global_wb scope:SCOPE_SE
	s_wait_dscnt 0x0
	s_barrier_signal -1
	s_barrier_wait -1
	global_inv scope:SCOPE_SE
	ds_load_b128 v[8:11], v188
	ds_load_b128 v[12:15], v188 offset:8624
	ds_load_b128 v[16:19], v188 offset:1232
	;; [unrolled: 1-line block ×13, first 2 shown]
	global_wb scope:SCOPE_SE
	s_wait_dscnt 0x0
	s_barrier_signal -1
	s_barrier_wait -1
	global_inv scope:SCOPE_SE
	scratch_load_b32 v64, off, off offset:308 th:TH_LOAD_LU ; 4-byte Folded Reload
	v_add_f64_e64 v[12:13], v[8:9], -v[12:13]
	v_add_f64_e64 v[14:15], v[10:11], -v[14:15]
	s_delay_alu instid0(VALU_DEP_2) | instskip(NEXT) | instid1(VALU_DEP_2)
	v_fma_f64 v[8:9], v[8:9], 2.0, -v[12:13]
	v_fma_f64 v[10:11], v[10:11], 2.0, -v[14:15]
	s_wait_loadcnt 0x0
	ds_store_b128 v64, v[12:15] offset:16
	ds_store_b128 v64, v[8:11]
	v_add_f64_e64 v[8:9], v[16:17], -v[20:21]
	v_add_f64_e64 v[10:11], v[18:19], -v[22:23]
	s_delay_alu instid0(VALU_DEP_2)
	v_fma_f64 v[12:13], v[16:17], 2.0, -v[8:9]
	scratch_load_b32 v16, off, off offset:304 th:TH_LOAD_LU ; 4-byte Folded Reload
	v_fma_f64 v[14:15], v[18:19], 2.0, -v[10:11]
	s_wait_loadcnt 0x0
	ds_store_b128 v16, v[8:11] offset:16
	ds_store_b128 v16, v[12:15]
	scratch_load_b32 v16, off, off offset:328 th:TH_LOAD_LU ; 4-byte Folded Reload
	v_add_f64_e64 v[8:9], v[24:25], -v[28:29]
	v_add_f64_e64 v[10:11], v[26:27], -v[30:31]
	s_delay_alu instid0(VALU_DEP_2) | instskip(NEXT) | instid1(VALU_DEP_2)
	v_fma_f64 v[12:13], v[24:25], 2.0, -v[8:9]
	v_fma_f64 v[14:15], v[26:27], 2.0, -v[10:11]
	s_wait_loadcnt 0x0
	ds_store_b128 v16, v[8:11] offset:16
	ds_store_b128 v16, v[12:15]
	scratch_load_b32 v16, off, off offset:324 th:TH_LOAD_LU ; 4-byte Folded Reload
	v_add_f64_e64 v[8:9], v[32:33], -v[36:37]
	v_add_f64_e64 v[10:11], v[34:35], -v[38:39]
	s_delay_alu instid0(VALU_DEP_2) | instskip(NEXT) | instid1(VALU_DEP_2)
	v_fma_f64 v[12:13], v[32:33], 2.0, -v[8:9]
	v_fma_f64 v[14:15], v[34:35], 2.0, -v[10:11]
	s_wait_loadcnt 0x0
	ds_store_b128 v16, v[8:11] offset:16
	ds_store_b128 v16, v[12:15]
	scratch_load_b32 v16, off, off offset:320 th:TH_LOAD_LU ; 4-byte Folded Reload
	v_add_f64_e64 v[8:9], v[40:41], -v[44:45]
	v_add_f64_e64 v[10:11], v[42:43], -v[46:47]
	s_delay_alu instid0(VALU_DEP_2) | instskip(NEXT) | instid1(VALU_DEP_2)
	v_fma_f64 v[12:13], v[40:41], 2.0, -v[8:9]
	v_fma_f64 v[14:15], v[42:43], 2.0, -v[10:11]
	s_wait_loadcnt 0x0
	ds_store_b128 v16, v[8:11] offset:16
	ds_store_b128 v16, v[12:15]
	scratch_load_b32 v24, off, off offset:316 th:TH_LOAD_LU ; 4-byte Folded Reload
	v_add_f64_e64 v[8:9], v[48:49], -v[52:53]
	v_add_f64_e64 v[10:11], v[50:51], -v[54:55]
	;; [unrolled: 1-line block ×4, first 2 shown]
	s_delay_alu instid0(VALU_DEP_4) | instskip(NEXT) | instid1(VALU_DEP_4)
	v_fma_f64 v[20:21], v[48:49], 2.0, -v[8:9]
	v_fma_f64 v[22:23], v[50:51], 2.0, -v[10:11]
	s_delay_alu instid0(VALU_DEP_4) | instskip(NEXT) | instid1(VALU_DEP_4)
	v_fma_f64 v[16:17], v[56:57], 2.0, -v[12:13]
	v_fma_f64 v[18:19], v[58:59], 2.0, -v[14:15]
	s_wait_loadcnt 0x0
	ds_store_b128 v24, v[20:23]
	ds_store_b128 v24, v[8:11] offset:16
	scratch_load_b32 v20, off, off offset:312 th:TH_LOAD_LU ; 4-byte Folded Reload
	s_wait_loadcnt 0x0
	ds_store_b128 v20, v[12:15] offset:16
	ds_store_b128 v20, v[16:19]
	global_wb scope:SCOPE_SE
	s_wait_dscnt 0x0
	s_barrier_signal -1
	s_barrier_wait -1
	global_inv scope:SCOPE_SE
	ds_load_b128 v[20:23], v188
	ds_load_b128 v[60:63], v188 offset:1568
	ds_load_b128 v[56:59], v188 offset:3136
	;; [unrolled: 1-line block ×10, first 2 shown]
	s_and_saveexec_b32 s2, vcc_lo
	s_cbranch_execz .LBB0_7
; %bb.6:
	ds_load_b128 v[8:11], v188 offset:1232
	ds_load_b128 v[16:19], v188 offset:2800
	;; [unrolled: 1-line block ×4, first 2 shown]
	s_wait_dscnt 0x0
	scratch_store_b128 off, v[64:67], off offset:32 ; 16-byte Folded Spill
	ds_load_b128 v[64:67], v188 offset:7504
	s_wait_dscnt 0x0
	scratch_store_b128 off, v[64:67], off offset:64 ; 16-byte Folded Spill
	ds_load_b128 v[208:211], v188 offset:9072
	ds_load_b128 v[224:227], v188 offset:10640
	;; [unrolled: 1-line block ×4, first 2 shown]
	s_wait_dscnt 0x0
	scratch_store_b128 off, v[64:67], off offset:48 ; 16-byte Folded Spill
	ds_load_b128 v[64:67], v188 offset:15344
	s_wait_dscnt 0x0
	scratch_store_b128 off, v[64:67], off offset:16 ; 16-byte Folded Spill
	ds_load_b128 v[64:67], v188 offset:16912
	s_wait_dscnt 0x0
	scratch_store_b128 off, v[64:67], off   ; 16-byte Folded Spill
.LBB0_7:
	s_wait_alu 0xfffe
	s_or_b32 exec_lo, exec_lo, s2
	s_wait_dscnt 0x9
	v_mul_f64_e32 v[64:65], v[122:123], v[62:63]
	s_mov_b32 s10, 0xf8bb580b
	s_mov_b32 s12, 0x8eee2c13
	s_mov_b32 s18, 0x43842ef
	s_mov_b32 s24, 0xbb3a28a1
	s_mov_b32 s28, 0xfd768dbf
	s_mov_b32 s11, 0xbfe14ced
	s_mov_b32 s13, 0xbfed1bb4
	s_mov_b32 s19, 0xbfefac9e
	s_mov_b32 s25, 0xbfe82f19
	s_mov_b32 s29, 0xbfd207e7
	s_mov_b32 s2, 0x8764f0ba
	s_mov_b32 s8, 0xd9c712b6
	s_mov_b32 s16, 0x640f44db
	s_mov_b32 s22, 0x7f775887
	s_mov_b32 s26, 0x9bcd5057
	s_mov_b32 s3, 0x3feaeb8c
	s_mov_b32 s9, 0x3fda9628
	s_mov_b32 s17, 0xbfc2375f
	s_mov_b32 s23, 0xbfe4f49e
	s_mov_b32 s27, 0xbfeeb42a
	s_mov_b32 s15, 0x3fe14ced
	s_wait_alu 0xfffe
	s_mov_b32 s14, s10
	s_mov_b32 s21, 0x3fed1bb4
	;; [unrolled: 1-line block ×9, first 2 shown]
	v_add_nc_u32_e32 v190, 0x4d0, v188
	global_wb scope:SCOPE_SE
	s_wait_storecnt_dscnt 0x0
	s_barrier_signal -1
	s_barrier_wait -1
	global_inv scope:SCOPE_SE
	v_fma_f64 v[64:65], v[120:121], v[60:61], v[64:65]
	v_mul_f64_e32 v[60:61], v[122:123], v[60:61]
	s_delay_alu instid0(VALU_DEP_1) | instskip(SKIP_1) | instid1(VALU_DEP_2)
	v_fma_f64 v[60:61], v[120:121], v[62:63], -v[60:61]
	v_mul_f64_e32 v[62:63], v[110:111], v[58:59]
	v_add_f64_e32 v[66:67], v[22:23], v[60:61]
	s_delay_alu instid0(VALU_DEP_2) | instskip(SKIP_1) | instid1(VALU_DEP_1)
	v_fma_f64 v[62:63], v[108:109], v[56:57], v[62:63]
	v_mul_f64_e32 v[56:57], v[110:111], v[56:57]
	v_fma_f64 v[58:59], v[108:109], v[58:59], -v[56:57]
	v_mul_f64_e32 v[56:57], v[106:107], v[54:55]
	s_delay_alu instid0(VALU_DEP_2) | instskip(NEXT) | instid1(VALU_DEP_2)
	v_add_f64_e32 v[66:67], v[66:67], v[58:59]
	v_fma_f64 v[56:57], v[104:105], v[52:53], v[56:57]
	v_mul_f64_e32 v[52:53], v[106:107], v[52:53]
	s_delay_alu instid0(VALU_DEP_1) | instskip(SKIP_1) | instid1(VALU_DEP_2)
	v_fma_f64 v[54:55], v[104:105], v[54:55], -v[52:53]
	v_mul_f64_e32 v[52:53], v[102:103], v[50:51]
	v_add_f64_e32 v[66:67], v[66:67], v[54:55]
	s_delay_alu instid0(VALU_DEP_2) | instskip(SKIP_1) | instid1(VALU_DEP_1)
	v_fma_f64 v[52:53], v[100:101], v[48:49], v[52:53]
	v_mul_f64_e32 v[48:49], v[102:103], v[48:49]
	v_fma_f64 v[50:51], v[100:101], v[50:51], -v[48:49]
	v_mul_f64_e32 v[48:49], v[130:131], v[46:47]
	s_delay_alu instid0(VALU_DEP_2) | instskip(NEXT) | instid1(VALU_DEP_2)
	v_add_f64_e32 v[66:67], v[66:67], v[50:51]
	;; [unrolled: 13-line block ×4, first 2 shown]
	v_fma_f64 v[34:35], v[132:133], v[28:29], v[34:35]
	v_mul_f64_e32 v[28:29], v[134:135], v[28:29]
	s_delay_alu instid0(VALU_DEP_1) | instskip(SKIP_1) | instid1(VALU_DEP_2)
	v_fma_f64 v[28:29], v[132:133], v[30:31], -v[28:29]
	v_mul_f64_e32 v[30:31], v[98:99], v[26:27]
	v_add_f64_e32 v[66:67], v[66:67], v[28:29]
	s_delay_alu instid0(VALU_DEP_2) | instskip(SKIP_1) | instid1(VALU_DEP_1)
	v_fma_f64 v[30:31], v[96:97], v[24:25], v[30:31]
	v_mul_f64_e32 v[24:25], v[98:99], v[24:25]
	v_fma_f64 v[24:25], v[96:97], v[26:27], -v[24:25]
	v_add_f64_e32 v[26:27], v[20:21], v[64:65]
	s_delay_alu instid0(VALU_DEP_2) | instskip(NEXT) | instid1(VALU_DEP_2)
	v_add_f64_e32 v[98:99], v[66:67], v[24:25]
	v_add_f64_e32 v[26:27], v[26:27], v[62:63]
	;; [unrolled: 1-line block ×3, first 2 shown]
	v_add_f64_e64 v[24:25], v[60:61], -v[24:25]
	s_delay_alu instid0(VALU_DEP_3) | instskip(NEXT) | instid1(VALU_DEP_3)
	v_add_f64_e32 v[26:27], v[26:27], v[56:57]
	v_mul_f64_e32 v[68:69], s[2:3], v[66:67]
	s_delay_alu instid0(VALU_DEP_3)
	v_mul_f64_e32 v[60:61], s[10:11], v[24:25]
	v_mul_f64_e32 v[72:73], s[12:13], v[24:25]
	;; [unrolled: 1-line block ×9, first 2 shown]
	v_add_f64_e32 v[26:27], v[26:27], v[52:53]
	s_delay_alu instid0(VALU_DEP_1) | instskip(NEXT) | instid1(VALU_DEP_1)
	v_add_f64_e32 v[26:27], v[26:27], v[48:49]
	v_add_f64_e32 v[26:27], v[26:27], v[46:47]
	s_delay_alu instid0(VALU_DEP_1) | instskip(NEXT) | instid1(VALU_DEP_1)
	v_add_f64_e32 v[26:27], v[26:27], v[42:43]
	;; [unrolled: 3-line block ×3, first 2 shown]
	v_add_f64_e32 v[96:97], v[26:27], v[30:31]
	v_add_f64_e32 v[26:27], v[64:65], v[30:31]
	v_add_f64_e64 v[30:31], v[64:65], -v[30:31]
	s_delay_alu instid0(VALU_DEP_2)
	v_fma_f64 v[64:65], v[26:27], s[2:3], v[60:61]
	v_fma_f64 v[60:61], v[26:27], s[2:3], -v[60:61]
	v_fma_f64 v[74:75], v[26:27], s[8:9], v[72:73]
	v_fma_f64 v[72:73], v[26:27], s[8:9], -v[72:73]
	v_fma_f64 v[82:83], v[26:27], s[16:17], v[80:81]
	v_fma_f64 v[80:81], v[26:27], s[16:17], -v[80:81]
	v_fma_f64 v[90:91], v[26:27], s[22:23], v[88:89]
	v_fma_f64 v[88:89], v[26:27], s[22:23], -v[88:89]
	v_fma_f64 v[100:101], v[26:27], s[26:27], v[24:25]
	v_fma_f64 v[24:25], v[26:27], s[26:27], -v[24:25]
	s_wait_alu 0xfffe
	v_fma_f64 v[70:71], v[30:31], s[14:15], v[68:69]
	v_fma_f64 v[68:69], v[30:31], s[10:11], v[68:69]
	;; [unrolled: 1-line block ×9, first 2 shown]
	v_add_f64_e32 v[26:27], v[58:59], v[28:29]
	v_add_f64_e64 v[28:29], v[58:59], -v[28:29]
	v_add_f64_e32 v[64:65], v[20:21], v[64:65]
	v_add_f64_e32 v[60:61], v[20:21], v[60:61]
	;; [unrolled: 1-line block ×10, first 2 shown]
	v_fma_f64 v[24:25], v[30:31], s[28:29], v[66:67]
	v_add_f64_e32 v[70:71], v[22:23], v[70:71]
	v_add_f64_e32 v[68:69], v[22:23], v[68:69]
	;; [unrolled: 1-line block ×9, first 2 shown]
	v_add_f64_e64 v[30:31], v[62:63], -v[34:35]
	v_add_f64_e32 v[22:23], v[22:23], v[24:25]
	v_add_f64_e32 v[24:25], v[62:63], v[34:35]
	v_mul_f64_e32 v[34:35], s[12:13], v[28:29]
	v_mul_f64_e32 v[62:63], s[8:9], v[26:27]
	s_delay_alu instid0(VALU_DEP_2) | instskip(SKIP_1) | instid1(VALU_DEP_2)
	v_fma_f64 v[58:59], v[24:25], s[8:9], v[34:35]
	v_fma_f64 v[34:35], v[24:25], s[8:9], -v[34:35]
	v_add_f64_e32 v[58:59], v[58:59], v[64:65]
	s_delay_alu instid0(VALU_DEP_4) | instskip(NEXT) | instid1(VALU_DEP_3)
	v_fma_f64 v[64:65], v[30:31], s[20:21], v[62:63]
	v_add_f64_e32 v[34:35], v[34:35], v[60:61]
	v_fma_f64 v[60:61], v[30:31], s[12:13], v[62:63]
	v_mul_f64_e32 v[62:63], s[24:25], v[28:29]
	s_delay_alu instid0(VALU_DEP_4) | instskip(NEXT) | instid1(VALU_DEP_3)
	v_add_f64_e32 v[64:65], v[64:65], v[70:71]
	v_add_f64_e32 v[60:61], v[60:61], v[68:69]
	s_delay_alu instid0(VALU_DEP_3) | instskip(SKIP_2) | instid1(VALU_DEP_3)
	v_fma_f64 v[66:67], v[24:25], s[22:23], v[62:63]
	v_fma_f64 v[62:63], v[24:25], s[22:23], -v[62:63]
	v_mul_f64_e32 v[68:69], s[22:23], v[26:27]
	v_add_f64_e32 v[66:67], v[66:67], v[74:75]
	s_delay_alu instid0(VALU_DEP_3) | instskip(SKIP_1) | instid1(VALU_DEP_4)
	v_add_f64_e32 v[62:63], v[62:63], v[72:73]
	v_mul_f64_e32 v[72:73], s[34:35], v[28:29]
	v_fma_f64 v[70:71], v[30:31], s[36:37], v[68:69]
	v_fma_f64 v[68:69], v[30:31], s[24:25], v[68:69]
	s_delay_alu instid0(VALU_DEP_3) | instskip(SKIP_1) | instid1(VALU_DEP_3)
	v_fma_f64 v[74:75], v[24:25], s[26:27], v[72:73]
	v_fma_f64 v[72:73], v[24:25], s[26:27], -v[72:73]
	v_add_f64_e32 v[68:69], v[68:69], v[76:77]
	v_mul_f64_e32 v[76:77], s[26:27], v[26:27]
	v_add_f64_e32 v[70:71], v[70:71], v[78:79]
	v_add_f64_e32 v[74:75], v[74:75], v[82:83]
	;; [unrolled: 1-line block ×3, first 2 shown]
	v_mul_f64_e32 v[80:81], s[30:31], v[28:29]
	v_fma_f64 v[78:79], v[30:31], s[28:29], v[76:77]
	v_fma_f64 v[76:77], v[30:31], s[34:35], v[76:77]
	v_mul_f64_e32 v[28:29], s[14:15], v[28:29]
	s_delay_alu instid0(VALU_DEP_4) | instskip(SKIP_1) | instid1(VALU_DEP_4)
	v_fma_f64 v[82:83], v[24:25], s[16:17], v[80:81]
	v_fma_f64 v[80:81], v[24:25], s[16:17], -v[80:81]
	v_add_f64_e32 v[76:77], v[76:77], v[84:85]
	v_mul_f64_e32 v[84:85], s[16:17], v[26:27]
	v_mul_f64_e32 v[26:27], s[2:3], v[26:27]
	v_add_f64_e32 v[78:79], v[78:79], v[86:87]
	v_add_f64_e32 v[82:83], v[82:83], v[90:91]
	;; [unrolled: 1-line block ×3, first 2 shown]
	v_fma_f64 v[88:89], v[24:25], s[2:3], v[28:29]
	v_fma_f64 v[24:25], v[24:25], s[2:3], -v[28:29]
	v_fma_f64 v[86:87], v[30:31], s[18:19], v[84:85]
	v_fma_f64 v[84:85], v[30:31], s[30:31], v[84:85]
	;; [unrolled: 1-line block ×3, first 2 shown]
	v_add_f64_e64 v[28:29], v[56:57], -v[38:39]
	v_add_f64_e32 v[88:89], v[88:89], v[100:101]
	v_add_f64_e32 v[20:21], v[24:25], v[20:21]
	v_fma_f64 v[24:25], v[30:31], s[14:15], v[26:27]
	v_add_f64_e64 v[30:31], v[54:55], -v[32:33]
	v_add_f64_e32 v[26:27], v[54:55], v[32:33]
	v_add_f64_e32 v[84:85], v[84:85], v[92:93]
	;; [unrolled: 1-line block ×6, first 2 shown]
	v_mul_f64_e32 v[32:33], s[18:19], v[30:31]
	v_mul_f64_e32 v[54:55], s[16:17], v[26:27]
	s_delay_alu instid0(VALU_DEP_2) | instskip(SKIP_1) | instid1(VALU_DEP_3)
	v_fma_f64 v[38:39], v[24:25], s[16:17], v[32:33]
	v_fma_f64 v[32:33], v[24:25], s[16:17], -v[32:33]
	v_fma_f64 v[56:57], v[28:29], s[30:31], v[54:55]
	s_delay_alu instid0(VALU_DEP_3) | instskip(NEXT) | instid1(VALU_DEP_3)
	v_add_f64_e32 v[38:39], v[38:39], v[58:59]
	v_add_f64_e32 v[32:33], v[32:33], v[34:35]
	v_fma_f64 v[34:35], v[28:29], s[18:19], v[54:55]
	v_mul_f64_e32 v[54:55], s[34:35], v[30:31]
	v_add_f64_e32 v[56:57], v[56:57], v[64:65]
	s_delay_alu instid0(VALU_DEP_3) | instskip(NEXT) | instid1(VALU_DEP_3)
	v_add_f64_e32 v[34:35], v[34:35], v[60:61]
	v_fma_f64 v[58:59], v[24:25], s[26:27], v[54:55]
	v_fma_f64 v[54:55], v[24:25], s[26:27], -v[54:55]
	v_mul_f64_e32 v[60:61], s[26:27], v[26:27]
	s_delay_alu instid0(VALU_DEP_3) | instskip(NEXT) | instid1(VALU_DEP_3)
	v_add_f64_e32 v[58:59], v[58:59], v[66:67]
	v_add_f64_e32 v[54:55], v[54:55], v[62:63]
	v_mul_f64_e32 v[62:63], s[20:21], v[30:31]
	s_delay_alu instid0(VALU_DEP_4) | instskip(SKIP_1) | instid1(VALU_DEP_3)
	v_fma_f64 v[64:65], v[28:29], s[28:29], v[60:61]
	v_fma_f64 v[60:61], v[28:29], s[34:35], v[60:61]
	;; [unrolled: 1-line block ×3, first 2 shown]
	v_fma_f64 v[62:63], v[24:25], s[8:9], -v[62:63]
	s_delay_alu instid0(VALU_DEP_3)
	v_add_f64_e32 v[60:61], v[60:61], v[68:69]
	v_mul_f64_e32 v[68:69], s[8:9], v[26:27]
	v_add_f64_e32 v[64:65], v[64:65], v[70:71]
	v_add_f64_e32 v[66:67], v[66:67], v[74:75]
	;; [unrolled: 1-line block ×3, first 2 shown]
	v_mul_f64_e32 v[72:73], s[10:11], v[30:31]
	v_fma_f64 v[70:71], v[28:29], s[12:13], v[68:69]
	v_fma_f64 v[68:69], v[28:29], s[20:21], v[68:69]
	v_mul_f64_e32 v[30:31], s[24:25], v[30:31]
	s_delay_alu instid0(VALU_DEP_4) | instskip(SKIP_1) | instid1(VALU_DEP_4)
	v_fma_f64 v[74:75], v[24:25], s[2:3], v[72:73]
	v_fma_f64 v[72:73], v[24:25], s[2:3], -v[72:73]
	v_add_f64_e32 v[68:69], v[68:69], v[76:77]
	v_mul_f64_e32 v[76:77], s[2:3], v[26:27]
	v_mul_f64_e32 v[26:27], s[22:23], v[26:27]
	v_add_f64_e32 v[70:71], v[70:71], v[78:79]
	v_add_f64_e32 v[74:75], v[74:75], v[82:83]
	;; [unrolled: 1-line block ×3, first 2 shown]
	v_fma_f64 v[80:81], v[24:25], s[22:23], v[30:31]
	v_fma_f64 v[24:25], v[24:25], s[22:23], -v[30:31]
	v_add_f64_e64 v[30:31], v[50:51], -v[36:37]
	v_fma_f64 v[82:83], v[28:29], s[36:37], v[26:27]
	v_fma_f64 v[78:79], v[28:29], s[14:15], v[76:77]
	;; [unrolled: 1-line block ×3, first 2 shown]
	v_add_f64_e32 v[80:81], v[80:81], v[88:89]
	v_add_f64_e32 v[20:21], v[24:25], v[20:21]
	v_fma_f64 v[24:25], v[28:29], s[24:25], v[26:27]
	v_add_f64_e32 v[26:27], v[50:51], v[36:37]
	v_mul_f64_e32 v[36:37], s[24:25], v[30:31]
	v_add_f64_e64 v[28:29], v[52:53], -v[42:43]
	v_add_f64_e32 v[76:77], v[76:77], v[84:85]
	v_add_f64_e32 v[78:79], v[78:79], v[86:87]
	;; [unrolled: 1-line block ×5, first 2 shown]
	v_mul_f64_e32 v[52:53], s[16:17], v[26:27]
	s_delay_alu instid0(VALU_DEP_2) | instskip(SKIP_1) | instid1(VALU_DEP_2)
	v_fma_f64 v[42:43], v[24:25], s[22:23], v[36:37]
	v_fma_f64 v[36:37], v[24:25], s[22:23], -v[36:37]
	v_add_f64_e32 v[38:39], v[42:43], v[38:39]
	v_mul_f64_e32 v[42:43], s[22:23], v[26:27]
	s_delay_alu instid0(VALU_DEP_3) | instskip(NEXT) | instid1(VALU_DEP_2)
	v_add_f64_e32 v[36:37], v[36:37], v[32:33]
	v_fma_f64 v[32:33], v[28:29], s[24:25], v[42:43]
	v_fma_f64 v[50:51], v[28:29], s[36:37], v[42:43]
	s_delay_alu instid0(VALU_DEP_2) | instskip(SKIP_1) | instid1(VALU_DEP_3)
	v_add_f64_e32 v[34:35], v[32:33], v[34:35]
	v_mul_f64_e32 v[32:33], s[30:31], v[30:31]
	v_add_f64_e32 v[50:51], v[50:51], v[56:57]
	v_fma_f64 v[56:57], v[28:29], s[18:19], v[52:53]
	s_delay_alu instid0(VALU_DEP_3) | instskip(SKIP_1) | instid1(VALU_DEP_3)
	v_fma_f64 v[42:43], v[24:25], s[16:17], v[32:33]
	v_fma_f64 v[32:33], v[24:25], s[16:17], -v[32:33]
	v_add_f64_e32 v[56:57], v[56:57], v[64:65]
	s_delay_alu instid0(VALU_DEP_3) | instskip(NEXT) | instid1(VALU_DEP_3)
	v_add_f64_e32 v[42:43], v[42:43], v[58:59]
	v_add_f64_e32 v[54:55], v[32:33], v[54:55]
	v_fma_f64 v[32:33], v[28:29], s[30:31], v[52:53]
	s_delay_alu instid0(VALU_DEP_1) | instskip(SKIP_2) | instid1(VALU_DEP_2)
	v_add_f64_e32 v[52:53], v[32:33], v[60:61]
	v_mul_f64_e32 v[32:33], s[10:11], v[30:31]
	v_mul_f64_e32 v[60:61], s[2:3], v[26:27]
	v_fma_f64 v[58:59], v[24:25], s[2:3], v[32:33]
	v_fma_f64 v[32:33], v[24:25], s[2:3], -v[32:33]
	s_delay_alu instid0(VALU_DEP_3) | instskip(NEXT) | instid1(VALU_DEP_3)
	v_fma_f64 v[64:65], v[28:29], s[14:15], v[60:61]
	v_add_f64_e32 v[58:59], v[58:59], v[66:67]
	s_delay_alu instid0(VALU_DEP_3) | instskip(SKIP_1) | instid1(VALU_DEP_4)
	v_add_f64_e32 v[62:63], v[32:33], v[62:63]
	v_fma_f64 v[32:33], v[28:29], s[10:11], v[60:61]
	v_add_f64_e32 v[64:65], v[64:65], v[70:71]
	s_delay_alu instid0(VALU_DEP_2) | instskip(SKIP_3) | instid1(VALU_DEP_3)
	v_add_f64_e32 v[60:61], v[32:33], v[68:69]
	v_mul_f64_e32 v[32:33], s[28:29], v[30:31]
	v_mul_f64_e32 v[68:69], s[26:27], v[26:27]
	;; [unrolled: 1-line block ×3, first 2 shown]
	v_fma_f64 v[66:67], v[24:25], s[26:27], v[32:33]
	v_fma_f64 v[32:33], v[24:25], s[26:27], -v[32:33]
	s_delay_alu instid0(VALU_DEP_4) | instskip(NEXT) | instid1(VALU_DEP_3)
	v_fma_f64 v[70:71], v[28:29], s[34:35], v[68:69]
	v_add_f64_e32 v[66:67], v[66:67], v[74:75]
	s_delay_alu instid0(VALU_DEP_3) | instskip(SKIP_1) | instid1(VALU_DEP_4)
	v_add_f64_e32 v[72:73], v[32:33], v[72:73]
	v_fma_f64 v[32:33], v[28:29], s[28:29], v[68:69]
	v_add_f64_e32 v[70:71], v[70:71], v[78:79]
	v_add_f64_e64 v[78:79], v[44:45], -v[40:41]
	s_delay_alu instid0(VALU_DEP_3) | instskip(SKIP_4) | instid1(VALU_DEP_4)
	v_add_f64_e32 v[68:69], v[32:33], v[76:77]
	v_mul_f64_e32 v[76:77], s[8:9], v[26:27]
	v_fma_f64 v[32:33], v[24:25], s[8:9], v[30:31]
	v_fma_f64 v[24:25], v[24:25], s[8:9], -v[30:31]
	v_add_f64_e32 v[30:31], v[48:49], v[46:47]
	v_fma_f64 v[26:27], v[28:29], s[12:13], v[76:77]
	s_delay_alu instid0(VALU_DEP_4) | instskip(NEXT) | instid1(VALU_DEP_2)
	v_add_f64_e32 v[74:75], v[32:33], v[80:81]
	v_add_f64_e32 v[32:33], v[26:27], v[82:83]
	;; [unrolled: 1-line block ×3, first 2 shown]
	v_fma_f64 v[20:21], v[28:29], s[20:21], v[76:77]
	v_add_f64_e32 v[76:77], v[44:45], v[40:41]
	v_add_f64_e64 v[28:29], v[48:49], -v[46:47]
	v_mul_f64_e32 v[46:47], s[24:25], v[78:79]
	s_delay_alu instid0(VALU_DEP_4) | instskip(SKIP_3) | instid1(VALU_DEP_3)
	v_add_f64_e32 v[24:25], v[20:21], v[22:23]
	v_mul_f64_e32 v[20:21], s[28:29], v[78:79]
	v_mul_f64_e32 v[40:41], s[2:3], v[76:77]
	;; [unrolled: 1-line block ×3, first 2 shown]
	v_fma_f64 v[22:23], v[30:31], s[26:27], v[20:21]
	v_fma_f64 v[20:21], v[30:31], s[26:27], -v[20:21]
	s_delay_alu instid0(VALU_DEP_3) | instskip(SKIP_1) | instid1(VALU_DEP_4)
	v_fma_f64 v[44:45], v[28:29], s[36:37], v[48:49]
	v_fma_f64 v[48:49], v[28:29], s[24:25], v[48:49]
	v_add_f64_e32 v[100:101], v[22:23], v[38:39]
	v_mul_f64_e32 v[22:23], s[26:27], v[76:77]
	v_add_f64_e32 v[20:21], v[20:21], v[36:37]
	v_fma_f64 v[36:37], v[28:29], s[10:11], v[40:41]
	v_fma_f64 v[40:41], v[28:29], s[14:15], v[40:41]
	v_add_f64_e32 v[44:45], v[44:45], v[64:65]
	v_mul_f64_e32 v[64:65], s[16:17], v[76:77]
	v_add_f64_e32 v[48:49], v[48:49], v[60:61]
	;; [unrolled: 5-line block ×3, first 2 shown]
	v_fma_f64 v[60:61], v[28:29], s[30:31], v[64:65]
	v_add_f64_e32 v[102:103], v[38:39], v[50:51]
	v_mul_f64_e32 v[38:39], s[14:15], v[78:79]
	v_add_f64_e32 v[22:23], v[22:23], v[34:35]
	v_fma_f64 v[52:53], v[28:29], s[12:13], v[56:57]
	v_fma_f64 v[56:57], v[28:29], s[20:21], v[56:57]
	;; [unrolled: 1-line block ×3, first 2 shown]
	v_add_f64_e32 v[60:61], v[60:61], v[32:33]
	v_fma_f64 v[34:35], v[30:31], s[2:3], v[38:39]
	v_fma_f64 v[38:39], v[30:31], s[2:3], -v[38:39]
	v_add_f64_e32 v[52:53], v[52:53], v[70:71]
	v_add_f64_e32 v[56:57], v[56:57], v[68:69]
	;; [unrolled: 1-line block ×4, first 2 shown]
	v_fma_f64 v[42:43], v[30:31], s[22:23], v[46:47]
	v_fma_f64 v[46:47], v[30:31], s[22:23], -v[46:47]
	v_add_f64_e32 v[38:39], v[38:39], v[54:55]
	v_mul_f64_e32 v[54:55], s[20:21], v[78:79]
	s_delay_alu instid0(VALU_DEP_4) | instskip(NEXT) | instid1(VALU_DEP_4)
	v_add_f64_e32 v[42:43], v[42:43], v[58:59]
	v_add_f64_e32 v[46:47], v[46:47], v[62:63]
	v_mul_f64_e32 v[62:63], s[18:19], v[78:79]
	s_delay_alu instid0(VALU_DEP_4) | instskip(SKIP_1) | instid1(VALU_DEP_3)
	v_fma_f64 v[50:51], v[30:31], s[8:9], v[54:55]
	v_fma_f64 v[54:55], v[30:31], s[8:9], -v[54:55]
	v_fma_f64 v[58:59], v[30:31], s[16:17], v[62:63]
	v_fma_f64 v[30:31], v[30:31], s[16:17], -v[62:63]
	s_delay_alu instid0(VALU_DEP_4) | instskip(NEXT) | instid1(VALU_DEP_4)
	v_add_f64_e32 v[50:51], v[50:51], v[66:67]
	v_add_f64_e32 v[54:55], v[54:55], v[72:73]
	s_delay_alu instid0(VALU_DEP_4) | instskip(NEXT) | instid1(VALU_DEP_4)
	v_add_f64_e32 v[58:59], v[58:59], v[74:75]
	v_add_f64_e32 v[26:27], v[30:31], v[26:27]
	ds_store_b128 v191, v[96:99]
	ds_store_b128 v191, v[100:103] offset:32
	ds_store_b128 v191, v[34:37] offset:64
	;; [unrolled: 1-line block ×10, first 2 shown]
	s_and_saveexec_b32 s33, vcc_lo
	s_cbranch_execz .LBB0_9
; %bb.8:
	scratch_load_b128 v[22:25], off, off offset:408 th:TH_LOAD_LU ; 16-byte Folded Reload
	v_mov_b32_e32 v189, v202
	s_wait_loadcnt 0x0
	v_mul_f64_e32 v[20:21], v[24:25], v[16:17]
	s_delay_alu instid0(VALU_DEP_1)
	v_fma_f64 v[48:49], v[22:23], v[18:19], -v[20:21]
	v_mul_f64_e32 v[18:19], v[24:25], v[18:19]
	scratch_load_b128 v[24:27], off, off offset:440 th:TH_LOAD_LU ; 16-byte Folded Reload
	v_fma_f64 v[50:51], v[22:23], v[16:17], v[18:19]
	s_clause 0x2
	scratch_load_b128 v[20:23], off, off offset:472 th:TH_LOAD_LU
	scratch_load_b128 v[28:31], off, off offset:376 th:TH_LOAD_LU
	;; [unrolled: 1-line block ×3, first 2 shown]
	v_add_f64_e32 v[94:95], v[8:9], v[50:51]
	s_wait_loadcnt 0x2
	v_mul_f64_e32 v[16:17], v[22:23], v[210:211]
	v_mul_f64_e32 v[18:19], v[22:23], v[208:209]
	v_mul_f64_e32 v[22:23], v[26:27], v[224:225]
	s_delay_alu instid0(VALU_DEP_3) | instskip(NEXT) | instid1(VALU_DEP_3)
	v_fma_f64 v[16:17], v[20:21], v[208:209], v[16:17]
	v_fma_f64 v[20:21], v[20:21], v[210:211], -v[18:19]
	v_mul_f64_e32 v[18:19], v[26:27], v[226:227]
	s_delay_alu instid0(VALU_DEP_4) | instskip(SKIP_1) | instid1(VALU_DEP_3)
	v_fma_f64 v[22:23], v[24:25], v[226:227], -v[22:23]
	v_mov_b32_e32 v209, v203
	v_fma_f64 v[18:19], v[24:25], v[224:225], v[18:19]
	s_wait_loadcnt 0x0
	v_mul_f64_e32 v[24:25], v[30:31], v[34:35]
	s_delay_alu instid0(VALU_DEP_4) | instskip(SKIP_1) | instid1(VALU_DEP_4)
	v_add_f64_e32 v[128:129], v[20:21], v[22:23]
	v_add_f64_e64 v[132:133], v[20:21], -v[22:23]
	v_add_f64_e64 v[126:127], v[16:17], -v[18:19]
	s_delay_alu instid0(VALU_DEP_4)
	v_fma_f64 v[26:27], v[28:29], v[32:33], v[24:25]
	v_mul_f64_e32 v[24:25], v[30:31], v[32:33]
	v_add_f64_e32 v[134:135], v[16:17], v[18:19]
	v_mul_f64_e32 v[191:192], s[18:19], v[132:133]
	v_mul_f64_e32 v[195:196], s[14:15], v[132:133]
	;; [unrolled: 1-line block ×4, first 2 shown]
	v_fma_f64 v[30:31], v[28:29], v[34:35], -v[24:25]
	s_clause 0x2
	scratch_load_b128 v[32:35], off, off offset:424 th:TH_LOAD_LU
	scratch_load_b128 v[36:39], off, off offset:360 th:TH_LOAD_LU
	;; [unrolled: 1-line block ×3, first 2 shown]
	s_wait_loadcnt 0x2
	v_mul_f64_e32 v[24:25], v[34:35], v[206:207]
	v_mul_f64_e32 v[28:29], v[34:35], v[204:205]
	s_delay_alu instid0(VALU_DEP_2) | instskip(NEXT) | instid1(VALU_DEP_2)
	v_fma_f64 v[24:25], v[32:33], v[204:205], v[24:25]
	v_fma_f64 v[28:29], v[32:33], v[206:207], -v[28:29]
	s_wait_loadcnt 0x0
	v_mul_f64_e32 v[32:33], v[38:39], v[42:43]
	v_mul_f64_e32 v[205:206], s[24:25], v[126:127]
	;; [unrolled: 1-line block ×3, first 2 shown]
	v_add_f64_e64 v[118:119], v[26:27], -v[24:25]
	v_add_f64_e32 v[120:121], v[30:31], v[28:29]
	v_fma_f64 v[34:35], v[36:37], v[40:41], v[32:33]
	v_mul_f64_e32 v[32:33], v[38:39], v[40:41]
	v_add_f64_e64 v[122:123], v[30:31], -v[28:29]
	v_add_f64_e32 v[124:125], v[26:27], v[24:25]
	s_delay_alu instid0(VALU_DEP_3)
	v_fma_f64 v[38:39], v[36:37], v[42:43], -v[32:33]
	s_clause 0x2
	scratch_load_b128 v[40:43], off, off offset:392 th:TH_LOAD_LU
	scratch_load_b128 v[44:47], off, off offset:48 th:TH_LOAD_LU
	;; [unrolled: 1-line block ×3, first 2 shown]
	s_wait_loadcnt 0x1
	v_mul_f64_e32 v[32:33], v[42:43], v[46:47]
	v_mul_f64_e32 v[36:37], v[42:43], v[44:45]
	s_delay_alu instid0(VALU_DEP_2) | instskip(NEXT) | instid1(VALU_DEP_2)
	v_fma_f64 v[32:33], v[40:41], v[44:45], v[32:33]
	v_fma_f64 v[36:37], v[40:41], v[46:47], -v[36:37]
	s_wait_loadcnt 0x0
	v_mul_f64_e32 v[40:41], v[54:55], v[14:15]
	s_delay_alu instid0(VALU_DEP_3) | instskip(NEXT) | instid1(VALU_DEP_3)
	v_add_f64_e64 v[110:111], v[34:35], -v[32:33]
	v_add_f64_e32 v[112:113], v[38:39], v[36:37]
	s_delay_alu instid0(VALU_DEP_3) | instskip(SKIP_3) | instid1(VALU_DEP_3)
	v_fma_f64 v[44:45], v[52:53], v[12:13], v[40:41]
	v_mul_f64_e32 v[12:13], v[54:55], v[12:13]
	v_add_f64_e64 v[114:115], v[38:39], -v[36:37]
	v_add_f64_e32 v[116:117], v[34:35], v[32:33]
	v_fma_f64 v[46:47], v[52:53], v[14:15], -v[12:13]
	s_clause 0x1
	scratch_load_b128 v[40:43], off, off offset:488 th:TH_LOAD_LU
	scratch_load_b128 v[52:55], off, off offset:16 th:TH_LOAD_LU
	s_wait_loadcnt 0x0
	v_mul_f64_e32 v[12:13], v[42:43], v[54:55]
	v_mul_f64_e32 v[14:15], v[42:43], v[52:53]
	s_delay_alu instid0(VALU_DEP_2) | instskip(NEXT) | instid1(VALU_DEP_2)
	v_fma_f64 v[12:13], v[40:41], v[52:53], v[12:13]
	v_fma_f64 v[40:41], v[40:41], v[54:55], -v[14:15]
	s_clause 0x1
	scratch_load_b128 v[52:55], off, off offset:456 th:TH_LOAD_LU
	scratch_load_b128 v[56:59], off, off th:TH_LOAD_LU
	v_add_f64_e64 v[102:103], v[44:45], -v[12:13]
	v_add_f64_e32 v[104:105], v[46:47], v[40:41]
	v_add_f64_e64 v[106:107], v[46:47], -v[40:41]
	v_add_f64_e32 v[108:109], v[44:45], v[12:13]
	v_add_f64_e32 v[44:45], v[94:95], v[44:45]
	s_delay_alu instid0(VALU_DEP_1) | instskip(NEXT) | instid1(VALU_DEP_1)
	v_add_f64_e32 v[34:35], v[44:45], v[34:35]
	v_add_f64_e32 v[26:27], v[34:35], v[26:27]
	s_delay_alu instid0(VALU_DEP_1) | instskip(NEXT) | instid1(VALU_DEP_1)
	;; [unrolled: 3-line block ×3, first 2 shown]
	v_add_f64_e32 v[16:17], v[16:17], v[24:25]
	v_add_f64_e32 v[16:17], v[16:17], v[32:33]
	s_delay_alu instid0(VALU_DEP_1) | instskip(SKIP_3) | instid1(VALU_DEP_2)
	v_add_f64_e32 v[12:13], v[16:17], v[12:13]
	s_wait_loadcnt 0x0
	v_mul_f64_e32 v[14:15], v[54:55], v[58:59]
	v_mul_f64_e32 v[42:43], v[54:55], v[56:57]
	v_fma_f64 v[14:15], v[52:53], v[56:57], v[14:15]
	s_delay_alu instid0(VALU_DEP_2) | instskip(NEXT) | instid1(VALU_DEP_2)
	v_fma_f64 v[42:43], v[52:53], v[58:59], -v[42:43]
	v_add_f64_e64 v[52:53], v[50:51], -v[14:15]
	s_delay_alu instid0(VALU_DEP_2) | instskip(SKIP_2) | instid1(VALU_DEP_4)
	v_add_f64_e32 v[62:63], v[48:49], v[42:43]
	v_add_f64_e32 v[82:83], v[50:51], v[14:15]
	;; [unrolled: 1-line block ×3, first 2 shown]
	v_mul_f64_e32 v[54:55], s[28:29], v[52:53]
	v_mul_f64_e32 v[56:57], s[24:25], v[52:53]
	;; [unrolled: 1-line block ×5, first 2 shown]
	v_fma_f64 v[64:65], v[62:63], s[26:27], v[54:55]
	v_fma_f64 v[54:55], v[62:63], s[26:27], -v[54:55]
	v_fma_f64 v[66:67], v[62:63], s[22:23], v[56:57]
	v_fma_f64 v[56:57], v[62:63], s[22:23], -v[56:57]
	;; [unrolled: 2-line block ×3, first 2 shown]
	v_fma_f64 v[70:71], v[62:63], s[8:9], -v[60:61]
	v_fma_f64 v[60:61], v[62:63], s[8:9], v[60:61]
	v_fma_f64 v[72:73], v[62:63], s[2:3], v[52:53]
	v_fma_f64 v[52:53], v[62:63], s[2:3], -v[52:53]
	v_add_f64_e64 v[62:63], v[48:49], -v[42:43]
	v_add_f64_e32 v[54:55], v[10:11], v[54:55]
	v_add_f64_e32 v[66:67], v[10:11], v[66:67]
	;; [unrolled: 1-line block ×7, first 2 shown]
	v_mul_f64_e32 v[74:75], s[28:29], v[62:63]
	v_mul_f64_e32 v[76:77], s[24:25], v[62:63]
	;; [unrolled: 1-line block ×6, first 2 shown]
	v_fma_f64 v[84:85], v[82:83], s[26:27], -v[74:75]
	v_fma_f64 v[74:75], v[82:83], s[26:27], v[74:75]
	v_fma_f64 v[86:87], v[82:83], s[22:23], -v[76:77]
	v_fma_f64 v[76:77], v[82:83], s[22:23], v[76:77]
	v_fma_f64 v[88:89], v[82:83], s[16:17], v[78:79]
	v_fma_f64 v[78:79], v[82:83], s[16:17], -v[78:79]
	v_fma_f64 v[90:91], v[82:83], s[8:9], v[80:81]
	v_fma_f64 v[80:81], v[82:83], s[8:9], -v[80:81]
	;; [unrolled: 2-line block ×3, first 2 shown]
	v_add_f64_e32 v[82:83], v[10:11], v[48:49]
	v_add_f64_e32 v[48:49], v[10:11], v[64:65]
	v_add_f64_e32 v[50:51], v[8:9], v[84:85]
	v_add_f64_e32 v[64:65], v[8:9], v[74:75]
	v_add_f64_e32 v[74:75], v[8:9], v[86:87]
	v_add_f64_e32 v[76:77], v[8:9], v[76:77]
	v_add_f64_e32 v[88:89], v[8:9], v[88:89]
	v_add_f64_e32 v[78:79], v[8:9], v[78:79]
	v_add_f64_e32 v[86:87], v[8:9], v[90:91]
	v_add_f64_e32 v[80:81], v[8:9], v[80:81]
	v_add_f64_e32 v[92:93], v[8:9], v[92:93]
	v_add_f64_e32 v[100:101], v[8:9], v[62:63]
	v_fma_f64 v[8:9], v[104:105], s[2:3], v[52:53]
	v_add_f64_e32 v[84:85], v[10:11], v[58:59]
	v_add_f64_e32 v[90:91], v[10:11], v[60:61]
	v_fma_f64 v[52:53], v[104:105], s[2:3], -v[52:53]
	v_add_f64_e32 v[46:47], v[82:83], v[46:47]
	v_add_f64_e32 v[8:9], v[8:9], v[48:49]
	v_mul_f64_e32 v[48:49], s[14:15], v[106:107]
	s_delay_alu instid0(VALU_DEP_4) | instskip(SKIP_2) | instid1(VALU_DEP_4)
	v_add_f64_e32 v[52:53], v[52:53], v[54:55]
	v_fma_f64 v[54:55], v[134:135], s[16:17], v[191:192]
	v_add_f64_e32 v[38:39], v[46:47], v[38:39]
	v_fma_f64 v[10:11], v[108:109], s[2:3], -v[48:49]
	v_fma_f64 v[48:49], v[108:109], s[2:3], v[48:49]
	s_delay_alu instid0(VALU_DEP_3) | instskip(NEXT) | instid1(VALU_DEP_3)
	v_add_f64_e32 v[30:31], v[38:39], v[30:31]
	v_add_f64_e32 v[10:11], v[10:11], v[50:51]
	v_mul_f64_e32 v[50:51], s[24:25], v[110:111]
	s_delay_alu instid0(VALU_DEP_4) | instskip(NEXT) | instid1(VALU_DEP_4)
	v_add_f64_e32 v[48:49], v[48:49], v[64:65]
	v_add_f64_e32 v[20:21], v[30:31], v[20:21]
	s_delay_alu instid0(VALU_DEP_3) | instskip(SKIP_1) | instid1(VALU_DEP_3)
	v_fma_f64 v[58:59], v[112:113], s[22:23], v[50:51]
	v_fma_f64 v[50:51], v[112:113], s[22:23], -v[50:51]
	v_add_f64_e32 v[20:21], v[20:21], v[22:23]
	s_delay_alu instid0(VALU_DEP_3) | instskip(SKIP_1) | instid1(VALU_DEP_4)
	v_add_f64_e32 v[8:9], v[58:59], v[8:9]
	v_mul_f64_e32 v[58:59], s[24:25], v[114:115]
	v_add_f64_e32 v[50:51], v[50:51], v[52:53]
	s_delay_alu instid0(VALU_DEP_4) | instskip(NEXT) | instid1(VALU_DEP_3)
	v_add_f64_e32 v[18:19], v[20:21], v[28:29]
	v_fma_f64 v[60:61], v[116:117], s[22:23], -v[58:59]
	v_fma_f64 v[52:53], v[116:117], s[22:23], v[58:59]
	v_mul_f64_e32 v[58:59], s[30:31], v[102:103]
	s_delay_alu instid0(VALU_DEP_4) | instskip(NEXT) | instid1(VALU_DEP_4)
	v_add_f64_e32 v[18:19], v[18:19], v[36:37]
	v_add_f64_e32 v[10:11], v[60:61], v[10:11]
	v_mul_f64_e32 v[60:61], s[20:21], v[118:119]
	v_add_f64_e32 v[48:49], v[52:53], v[48:49]
	s_delay_alu instid0(VALU_DEP_4) | instskip(NEXT) | instid1(VALU_DEP_3)
	v_add_f64_e32 v[18:19], v[18:19], v[40:41]
	v_fma_f64 v[62:63], v[120:121], s[8:9], v[60:61]
	v_fma_f64 v[52:53], v[120:121], s[8:9], -v[60:61]
	v_mul_f64_e32 v[60:61], s[30:31], v[106:107]
	s_delay_alu instid0(VALU_DEP_4) | instskip(NEXT) | instid1(VALU_DEP_4)
	v_add_f64_e32 v[16:17], v[18:19], v[42:43]
	v_add_f64_e32 v[8:9], v[62:63], v[8:9]
	v_mul_f64_e32 v[62:63], s[20:21], v[122:123]
	v_add_f64_e32 v[50:51], v[52:53], v[50:51]
	s_delay_alu instid0(VALU_DEP_2) | instskip(SKIP_2) | instid1(VALU_DEP_3)
	v_fma_f64 v[52:53], v[124:125], s[8:9], v[62:63]
	v_fma_f64 v[72:73], v[124:125], s[8:9], -v[62:63]
	v_mul_f64_e32 v[62:63], s[10:11], v[110:111]
	v_add_f64_e32 v[48:49], v[52:53], v[48:49]
	v_fma_f64 v[52:53], v[128:129], s[16:17], -v[130:131]
	s_delay_alu instid0(VALU_DEP_3)
	v_fma_f64 v[64:65], v[112:113], s[2:3], v[62:63]
	v_add_f64_e32 v[72:73], v[72:73], v[10:11]
	v_fma_f64 v[10:11], v[128:129], s[16:17], v[130:131]
	v_mul_f64_e32 v[130:131], s[20:21], v[126:127]
	v_add_f64_e32 v[48:49], v[54:55], v[48:49]
	v_add_f64_e32 v[50:51], v[52:53], v[50:51]
	v_fma_f64 v[52:53], v[104:105], s[16:17], v[58:59]
	v_fma_f64 v[54:55], v[108:109], s[16:17], -v[60:61]
	v_add_f64_e32 v[10:11], v[10:11], v[8:9]
	v_fma_f64 v[8:9], v[134:135], s[16:17], -v[191:192]
	v_fma_f64 v[58:59], v[104:105], s[16:17], -v[58:59]
	v_mul_f64_e32 v[191:192], s[20:21], v[132:133]
	v_add_f64_e32 v[52:53], v[52:53], v[66:67]
	v_add_f64_e32 v[54:55], v[54:55], v[74:75]
	;; [unrolled: 1-line block ×4, first 2 shown]
	v_fma_f64 v[58:59], v[108:109], s[16:17], v[60:61]
	v_fma_f64 v[60:61], v[112:113], s[2:3], -v[62:63]
	v_fma_f64 v[62:63], v[134:135], s[8:9], v[191:192]
	v_add_f64_e32 v[52:53], v[64:65], v[52:53]
	v_mul_f64_e32 v[64:65], s[10:11], v[114:115]
	v_add_f64_e32 v[58:59], v[58:59], v[76:77]
	v_add_f64_e32 v[56:57], v[60:61], v[56:57]
	v_mul_f64_e32 v[76:77], s[34:35], v[110:111]
	s_delay_alu instid0(VALU_DEP_4) | instskip(SKIP_1) | instid1(VALU_DEP_3)
	v_fma_f64 v[66:67], v[116:117], s[2:3], -v[64:65]
	v_fma_f64 v[60:61], v[116:117], s[2:3], v[64:65]
	v_fma_f64 v[64:65], v[112:113], s[26:27], -v[76:77]
	v_fma_f64 v[76:77], v[112:113], s[26:27], v[76:77]
	s_delay_alu instid0(VALU_DEP_4) | instskip(SKIP_2) | instid1(VALU_DEP_2)
	v_add_f64_e32 v[54:55], v[66:67], v[54:55]
	v_mul_f64_e32 v[66:67], s[28:29], v[118:119]
	v_add_f64_e32 v[58:59], v[60:61], v[58:59]
	v_fma_f64 v[72:73], v[120:121], s[26:27], v[66:67]
	v_fma_f64 v[60:61], v[120:121], s[26:27], -v[66:67]
	s_delay_alu instid0(VALU_DEP_2) | instskip(SKIP_1) | instid1(VALU_DEP_3)
	v_add_f64_e32 v[52:53], v[72:73], v[52:53]
	v_mul_f64_e32 v[72:73], s[28:29], v[122:123]
	v_add_f64_e32 v[56:57], v[60:61], v[56:57]
	s_delay_alu instid0(VALU_DEP_2) | instskip(SKIP_2) | instid1(VALU_DEP_3)
	v_fma_f64 v[74:75], v[124:125], s[26:27], -v[72:73]
	v_fma_f64 v[60:61], v[124:125], s[26:27], v[72:73]
	v_mul_f64_e32 v[72:73], s[24:25], v[102:103]
	v_add_f64_e32 v[74:75], v[74:75], v[54:55]
	v_fma_f64 v[54:55], v[128:129], s[8:9], v[130:131]
	s_delay_alu instid0(VALU_DEP_4) | instskip(SKIP_2) | instid1(VALU_DEP_4)
	v_add_f64_e32 v[60:61], v[60:61], v[58:59]
	v_fma_f64 v[58:59], v[128:129], s[8:9], -v[130:131]
	v_mul_f64_e32 v[130:131], s[30:31], v[118:119]
	v_add_f64_e32 v[54:55], v[54:55], v[52:53]
	v_fma_f64 v[52:53], v[134:135], s[8:9], -v[191:192]
	s_delay_alu instid0(VALU_DEP_4)
	v_add_f64_e32 v[58:59], v[58:59], v[56:57]
	v_add_f64_e32 v[56:57], v[62:63], v[60:61]
	v_fma_f64 v[60:61], v[104:105], s[22:23], -v[72:73]
	v_mul_f64_e32 v[191:192], s[30:31], v[122:123]
	v_fma_f64 v[72:73], v[104:105], s[22:23], v[72:73]
	v_add_f64_e32 v[52:53], v[52:53], v[74:75]
	v_mul_f64_e32 v[74:75], s[24:25], v[106:107]
	v_add_f64_e32 v[60:61], v[60:61], v[70:71]
	v_mul_f64_e32 v[70:71], s[34:35], v[102:103]
	v_add_f64_e32 v[72:73], v[72:73], v[90:91]
	s_delay_alu instid0(VALU_DEP_4) | instskip(SKIP_2) | instid1(VALU_DEP_4)
	v_fma_f64 v[62:63], v[108:109], s[22:23], v[74:75]
	v_fma_f64 v[74:75], v[108:109], s[22:23], -v[74:75]
	v_add_f64_e32 v[60:61], v[64:65], v[60:61]
	v_add_f64_e32 v[72:73], v[76:77], v[72:73]
	s_delay_alu instid0(VALU_DEP_4) | instskip(SKIP_4) | instid1(VALU_DEP_4)
	v_add_f64_e32 v[62:63], v[62:63], v[86:87]
	v_mul_f64_e32 v[86:87], s[34:35], v[114:115]
	v_add_f64_e32 v[74:75], v[74:75], v[80:81]
	v_mul_f64_e32 v[80:81], s[12:13], v[102:103]
	v_mul_f64_e32 v[102:103], s[28:29], v[126:127]
	v_fma_f64 v[64:65], v[116:117], s[26:27], v[86:87]
	v_fma_f64 v[76:77], v[116:117], s[26:27], -v[86:87]
	v_mul_f64_e32 v[86:87], s[18:19], v[110:111]
	v_fma_f64 v[12:13], v[104:105], s[8:9], v[80:81]
	s_delay_alu instid0(VALU_DEP_4)
	v_add_f64_e32 v[62:63], v[64:65], v[62:63]
	v_fma_f64 v[64:65], v[120:121], s[16:17], -v[130:131]
	v_add_f64_e32 v[74:75], v[76:77], v[74:75]
	v_fma_f64 v[76:77], v[120:121], s[16:17], v[130:131]
	v_fma_f64 v[20:21], v[112:113], s[16:17], v[86:87]
	v_add_f64_e32 v[12:13], v[12:13], v[96:97]
	v_add_f64_e32 v[60:61], v[64:65], v[60:61]
	v_fma_f64 v[64:65], v[124:125], s[16:17], v[191:192]
	v_add_f64_e32 v[72:73], v[76:77], v[72:73]
	v_fma_f64 v[76:77], v[124:125], s[16:17], -v[191:192]
	v_add_f64_e32 v[12:13], v[20:21], v[12:13]
	v_fma_f64 v[20:21], v[128:129], s[26:27], v[102:103]
	v_add_f64_e32 v[64:65], v[64:65], v[62:63]
	v_fma_f64 v[62:63], v[128:129], s[2:3], -v[193:194]
	v_add_f64_e32 v[76:77], v[76:77], v[74:75]
	v_fma_f64 v[74:75], v[128:129], s[2:3], v[193:194]
	s_delay_alu instid0(VALU_DEP_3) | instskip(SKIP_1) | instid1(VALU_DEP_3)
	v_add_f64_e32 v[62:63], v[62:63], v[60:61]
	v_fma_f64 v[60:61], v[134:135], s[2:3], v[195:196]
	v_add_f64_e32 v[74:75], v[74:75], v[72:73]
	s_delay_alu instid0(VALU_DEP_2) | instskip(SKIP_2) | instid1(VALU_DEP_2)
	v_add_f64_e32 v[60:61], v[60:61], v[64:65]
	v_fma_f64 v[64:65], v[104:105], s[26:27], -v[70:71]
	v_fma_f64 v[70:71], v[104:105], s[26:27], v[70:71]
	v_add_f64_e32 v[64:65], v[64:65], v[84:85]
	v_mul_f64_e32 v[84:85], s[34:35], v[106:107]
	s_delay_alu instid0(VALU_DEP_3) | instskip(NEXT) | instid1(VALU_DEP_2)
	v_add_f64_e32 v[68:69], v[70:71], v[68:69]
	v_fma_f64 v[66:67], v[108:109], s[26:27], v[84:85]
	v_fma_f64 v[70:71], v[108:109], s[26:27], -v[84:85]
	v_fma_f64 v[84:85], v[134:135], s[22:23], -v[207:208]
	s_delay_alu instid0(VALU_DEP_3) | instskip(SKIP_1) | instid1(VALU_DEP_4)
	v_add_f64_e32 v[66:67], v[66:67], v[88:89]
	v_mul_f64_e32 v[88:89], s[20:21], v[110:111]
	v_add_f64_e32 v[70:71], v[70:71], v[78:79]
	s_delay_alu instid0(VALU_DEP_2) | instskip(SKIP_2) | instid1(VALU_DEP_3)
	v_fma_f64 v[197:198], v[112:113], s[8:9], -v[88:89]
	v_fma_f64 v[78:79], v[112:113], s[8:9], v[88:89]
	v_fma_f64 v[88:89], v[112:113], s[16:17], -v[86:87]
	v_add_f64_e32 v[64:65], v[197:198], v[64:65]
	v_mul_f64_e32 v[197:198], s[20:21], v[114:115]
	s_delay_alu instid0(VALU_DEP_4) | instskip(NEXT) | instid1(VALU_DEP_2)
	v_add_f64_e32 v[68:69], v[78:79], v[68:69]
	v_fma_f64 v[199:200], v[116:117], s[8:9], v[197:198]
	v_fma_f64 v[78:79], v[116:117], s[8:9], -v[197:198]
	s_delay_alu instid0(VALU_DEP_2) | instskip(SKIP_1) | instid1(VALU_DEP_3)
	v_add_f64_e32 v[66:67], v[199:200], v[66:67]
	v_mul_f64_e32 v[199:200], s[10:11], v[118:119]
	v_add_f64_e32 v[70:71], v[78:79], v[70:71]
	s_delay_alu instid0(VALU_DEP_2) | instskip(SKIP_1) | instid1(VALU_DEP_2)
	v_fma_f64 v[201:202], v[120:121], s[2:3], -v[199:200]
	v_fma_f64 v[78:79], v[120:121], s[2:3], v[199:200]
	v_add_f64_e32 v[64:65], v[201:202], v[64:65]
	v_mul_f64_e32 v[201:202], s[10:11], v[122:123]
	s_delay_alu instid0(VALU_DEP_3) | instskip(NEXT) | instid1(VALU_DEP_2)
	v_add_f64_e32 v[68:69], v[78:79], v[68:69]
	v_fma_f64 v[78:79], v[124:125], s[2:3], -v[201:202]
	v_fma_f64 v[203:204], v[124:125], s[2:3], v[201:202]
	v_mov_b32_e32 v202, v189
	s_delay_alu instid0(VALU_DEP_3) | instskip(SKIP_1) | instid1(VALU_DEP_4)
	v_add_f64_e32 v[78:79], v[78:79], v[70:71]
	v_fma_f64 v[70:71], v[128:129], s[22:23], v[205:206]
	v_add_f64_e32 v[203:204], v[203:204], v[66:67]
	v_fma_f64 v[66:67], v[128:129], s[22:23], -v[205:206]
	s_delay_alu instid0(VALU_DEP_3)
	v_add_f64_e32 v[70:71], v[70:71], v[68:69]
	v_add_f64_e32 v[68:69], v[84:85], v[78:79]
	v_fma_f64 v[78:79], v[134:135], s[2:3], -v[195:196]
	v_mul_f64_e32 v[84:85], s[12:13], v[106:107]
	v_mul_f64_e32 v[106:107], s[28:29], v[132:133]
	v_add_f64_e32 v[66:67], v[66:67], v[64:65]
	v_fma_f64 v[64:65], v[134:135], s[22:23], v[207:208]
	v_add_f64_e32 v[72:73], v[78:79], v[76:77]
	v_fma_f64 v[76:77], v[104:105], s[8:9], -v[80:81]
	v_fma_f64 v[78:79], v[108:109], s[8:9], v[84:85]
	v_fma_f64 v[18:19], v[108:109], s[8:9], -v[84:85]
	v_add_f64_e32 v[64:65], v[64:65], v[203:204]
	s_delay_alu instid0(VALU_DEP_4) | instskip(NEXT) | instid1(VALU_DEP_4)
	v_add_f64_e32 v[76:77], v[76:77], v[98:99]
	v_add_f64_e32 v[78:79], v[78:79], v[92:93]
	s_delay_alu instid0(VALU_DEP_4) | instskip(NEXT) | instid1(VALU_DEP_3)
	v_add_f64_e32 v[18:19], v[18:19], v[100:101]
	v_add_f64_e32 v[76:77], v[88:89], v[76:77]
	v_mul_f64_e32 v[88:89], s[18:19], v[114:115]
	s_delay_alu instid0(VALU_DEP_1) | instskip(SKIP_1) | instid1(VALU_DEP_2)
	v_fma_f64 v[90:91], v[116:117], s[16:17], v[88:89]
	v_fma_f64 v[22:23], v[116:117], s[16:17], -v[88:89]
	v_add_f64_e32 v[78:79], v[90:91], v[78:79]
	v_mul_f64_e32 v[90:91], s[24:25], v[118:119]
	s_delay_alu instid0(VALU_DEP_3) | instskip(SKIP_1) | instid1(VALU_DEP_3)
	v_add_f64_e32 v[18:19], v[22:23], v[18:19]
	v_fma_f64 v[22:23], v[134:135], s[26:27], -v[106:107]
	v_fma_f64 v[24:25], v[120:121], s[22:23], v[90:91]
	v_fma_f64 v[92:93], v[120:121], s[22:23], -v[90:91]
	s_delay_alu instid0(VALU_DEP_2) | instskip(NEXT) | instid1(VALU_DEP_2)
	v_add_f64_e32 v[12:13], v[24:25], v[12:13]
	v_add_f64_e32 v[76:77], v[92:93], v[76:77]
	v_mul_f64_e32 v[92:93], s[24:25], v[122:123]
	s_delay_alu instid0(VALU_DEP_3)
	v_add_f64_e32 v[20:21], v[20:21], v[12:13]
	s_clause 0x1
	scratch_load_b32 v12, off, off offset:504 th:TH_LOAD_LU
	scratch_load_b32 v13, off, off offset:340 th:TH_LOAD_LU
	v_fma_f64 v[98:99], v[124:125], s[22:23], v[92:93]
	v_fma_f64 v[26:27], v[124:125], s[22:23], -v[92:93]
	s_delay_alu instid0(VALU_DEP_2) | instskip(SKIP_1) | instid1(VALU_DEP_3)
	v_add_f64_e32 v[98:99], v[98:99], v[78:79]
	v_fma_f64 v[78:79], v[128:129], s[26:27], -v[102:103]
	v_add_f64_e32 v[18:19], v[26:27], v[18:19]
	s_delay_alu instid0(VALU_DEP_2) | instskip(SKIP_1) | instid1(VALU_DEP_3)
	v_add_f64_e32 v[78:79], v[78:79], v[76:77]
	v_fma_f64 v[76:77], v[134:135], s[26:27], v[106:107]
	v_add_f64_e32 v[18:19], v[22:23], v[18:19]
	s_delay_alu instid0(VALU_DEP_2) | instskip(SKIP_3) | instid1(VALU_DEP_1)
	v_add_f64_e32 v[76:77], v[76:77], v[98:99]
	s_wait_loadcnt 0x1
	v_mul_u32_u24_e32 v12, 22, v12
	s_wait_loadcnt 0x0
	v_or_b32_e32 v12, v12, v13
	s_delay_alu instid0(VALU_DEP_1)
	v_lshl_add_u32 v12, v12, 4, v209
	ds_store_b128 v12, v[60:63] offset:64
	ds_store_b128 v12, v[64:67] offset:96
	;; [unrolled: 1-line block ×9, first 2 shown]
	ds_store_b128 v12, v[14:17]
	ds_store_b128 v12, v[18:21] offset:320
.LBB0_9:
	s_or_b32 exec_lo, exec_lo, s33
	global_wb scope:SCOPE_SE
	s_wait_dscnt 0x0
	s_barrier_signal -1
	s_barrier_wait -1
	global_inv scope:SCOPE_SE
	ds_load_b128 v[8:11], v188 offset:2464
	ds_load_b128 v[12:15], v188 offset:4928
	;; [unrolled: 1-line block ×12, first 2 shown]
	s_mov_b32 s12, 0x37e14327
	s_mov_b32 s2, 0x36b3c0b5
	;; [unrolled: 1-line block ×9, first 2 shown]
	s_wait_dscnt 0xb
	v_mul_f64_e32 v[56:57], v[150:151], v[10:11]
	v_mul_f64_e32 v[58:59], v[150:151], v[8:9]
	s_wait_dscnt 0xa
	v_mul_f64_e32 v[60:61], v[146:147], v[14:15]
	v_mul_f64_e32 v[62:63], v[146:147], v[12:13]
	;; [unrolled: 3-line block ×9, first 2 shown]
	v_mul_f64_e32 v[92:93], v[142:143], v[42:43]
	v_mul_f64_e32 v[94:95], v[142:143], v[40:41]
	s_mov_b32 s14, 0x5476071b
	s_mov_b32 s22, 0xb247c609
	;; [unrolled: 1-line block ×7, first 2 shown]
	s_wait_alu 0xfffe
	s_mov_b32 s18, s14
	s_mov_b32 s20, s22
	;; [unrolled: 1-line block ×4, first 2 shown]
	v_fma_f64 v[8:9], v[148:149], v[8:9], v[56:57]
	v_fma_f64 v[10:11], v[148:149], v[10:11], -v[58:59]
	v_fma_f64 v[12:13], v[144:145], v[12:13], v[60:61]
	v_fma_f64 v[14:15], v[144:145], v[14:15], -v[62:63]
	;; [unrolled: 2-line block ×4, first 2 shown]
	s_wait_dscnt 0x1
	v_mul_f64_e32 v[56:57], v[162:163], v[50:51]
	v_mul_f64_e32 v[58:59], v[162:163], v[48:49]
	s_wait_dscnt 0x0
	v_mul_f64_e32 v[60:61], v[166:167], v[54:55]
	v_mul_f64_e32 v[62:63], v[166:167], v[52:53]
	v_fma_f64 v[24:25], v[168:169], v[24:25], v[72:73]
	v_fma_f64 v[26:27], v[168:169], v[26:27], -v[74:75]
	v_fma_f64 v[28:29], v[172:173], v[28:29], v[76:77]
	v_fma_f64 v[30:31], v[172:173], v[30:31], -v[78:79]
	;; [unrolled: 2-line block ×6, first 2 shown]
	v_add_f64_e32 v[64:65], v[8:9], v[16:17]
	v_add_f64_e32 v[66:67], v[10:11], v[18:19]
	;; [unrolled: 1-line block ×4, first 2 shown]
	v_fma_f64 v[48:49], v[160:161], v[48:49], v[56:57]
	v_fma_f64 v[50:51], v[160:161], v[50:51], -v[58:59]
	v_fma_f64 v[52:53], v[164:165], v[52:53], v[60:61]
	v_fma_f64 v[54:55], v[164:165], v[54:55], -v[62:63]
	v_add_f64_e64 v[20:21], v[12:13], -v[20:21]
	v_add_f64_e64 v[22:23], v[14:15], -v[22:23]
	;; [unrolled: 1-line block ×4, first 2 shown]
	v_add_f64_e32 v[56:57], v[24:25], v[32:33]
	v_add_f64_e32 v[58:59], v[26:27], v[34:35]
	;; [unrolled: 1-line block ×4, first 2 shown]
	v_add_f64_e64 v[28:29], v[28:29], -v[36:37]
	v_add_f64_e64 v[30:31], v[30:31], -v[38:39]
	v_add_f64_e32 v[72:73], v[44:45], v[40:41]
	v_add_f64_e32 v[74:75], v[46:47], v[42:43]
	v_add_f64_e64 v[40:41], v[40:41], -v[44:45]
	v_add_f64_e64 v[42:43], v[42:43], -v[46:47]
	;; [unrolled: 1-line block ×4, first 2 shown]
	ds_load_b128 v[8:11], v188
	ds_load_b128 v[12:15], v188 offset:1232
	global_wb scope:SCOPE_SE
	s_wait_dscnt 0x0
	s_barrier_signal -1
	s_barrier_wait -1
	global_inv scope:SCOPE_SE
	v_add_f64_e32 v[44:45], v[68:69], v[64:65]
	v_add_f64_e32 v[46:47], v[70:71], v[66:67]
	;; [unrolled: 1-line block ×4, first 2 shown]
	v_add_f64_e64 v[48:49], v[52:53], -v[48:49]
	v_add_f64_e64 v[50:51], v[54:55], -v[50:51]
	;; [unrolled: 1-line block ×4, first 2 shown]
	v_add_f64_e32 v[32:33], v[60:61], v[56:57]
	v_add_f64_e32 v[34:35], v[62:63], v[58:59]
	v_add_f64_e64 v[52:53], v[64:65], -v[72:73]
	v_add_f64_e64 v[54:55], v[66:67], -v[74:75]
	;; [unrolled: 1-line block ×10, first 2 shown]
	v_add_f64_e32 v[20:21], v[40:41], v[20:21]
	v_add_f64_e32 v[22:23], v[42:43], v[22:23]
	v_add_f64_e64 v[40:41], v[16:17], -v[40:41]
	v_add_f64_e64 v[42:43], v[18:19], -v[42:43]
	v_add_f64_e32 v[44:45], v[72:73], v[44:45]
	v_add_f64_e32 v[46:47], v[74:75], v[46:47]
	v_add_f64_e64 v[72:73], v[56:57], -v[36:37]
	v_add_f64_e64 v[74:75], v[58:59], -v[38:39]
	;; [unrolled: 1-line block ×4, first 2 shown]
	v_add_f64_e32 v[28:29], v[48:49], v[28:29]
	v_add_f64_e32 v[30:31], v[50:51], v[30:31]
	v_mul_f64_e32 v[96:97], s[8:9], v[84:85]
	v_mul_f64_e32 v[98:99], s[8:9], v[86:87]
	v_add_f64_e32 v[32:33], v[36:37], v[32:33]
	v_add_f64_e32 v[34:35], v[38:39], v[34:35]
	v_add_f64_e64 v[36:37], v[36:37], -v[60:61]
	v_add_f64_e64 v[38:39], v[38:39], -v[62:63]
	v_mul_f64_e32 v[52:53], s[12:13], v[52:53]
	v_mul_f64_e32 v[54:55], s[12:13], v[54:55]
	;; [unrolled: 1-line block ×6, first 2 shown]
	v_add_f64_e64 v[48:49], v[24:25], -v[48:49]
	v_add_f64_e64 v[50:51], v[26:27], -v[50:51]
	v_mul_f64_e32 v[100:101], s[8:9], v[92:93]
	v_mul_f64_e32 v[102:103], s[8:9], v[94:95]
	v_add_f64_e64 v[56:57], v[60:61], -v[56:57]
	v_add_f64_e64 v[58:59], v[62:63], -v[58:59]
	v_add_f64_e32 v[16:17], v[20:21], v[16:17]
	v_add_f64_e32 v[18:19], v[22:23], v[18:19]
	;; [unrolled: 1-line block ×4, first 2 shown]
	v_mul_f64_e32 v[72:73], s[12:13], v[72:73]
	v_mul_f64_e32 v[74:75], s[12:13], v[74:75]
	;; [unrolled: 1-line block ×4, first 2 shown]
	v_add_f64_e32 v[20:21], v[28:29], v[24:25]
	v_add_f64_e32 v[22:23], v[30:31], v[26:27]
	;; [unrolled: 1-line block ×4, first 2 shown]
	v_mul_f64_e32 v[60:61], s[2:3], v[36:37]
	v_mul_f64_e32 v[62:63], s[2:3], v[38:39]
	v_fma_f64 v[24:25], v[76:77], s[2:3], v[52:53]
	v_fma_f64 v[26:27], v[78:79], s[2:3], v[54:55]
	v_fma_f64 v[28:29], v[64:65], s[14:15], -v[68:69]
	v_fma_f64 v[30:31], v[66:67], s[14:15], -v[70:71]
	v_fma_f64 v[68:69], v[40:41], s[22:23], v[80:81]
	v_fma_f64 v[70:71], v[42:43], s[22:23], v[82:83]
	v_fma_f64 v[76:77], v[84:85], s[8:9], -v[80:81]
	v_fma_f64 v[78:79], v[86:87], s[8:9], -v[82:83]
	s_wait_alu 0xfffe
	v_fma_f64 v[40:41], v[40:41], s[20:21], -v[96:97]
	v_fma_f64 v[42:43], v[42:43], s[20:21], -v[98:99]
	;; [unrolled: 1-line block ×4, first 2 shown]
	v_fma_f64 v[44:45], v[44:45], s[10:11], v[8:9]
	v_fma_f64 v[46:47], v[46:47], s[10:11], v[10:11]
	v_fma_f64 v[36:37], v[36:37], s[2:3], v[72:73]
	v_fma_f64 v[38:39], v[38:39], s[2:3], v[74:75]
	v_fma_f64 v[64:65], v[48:49], s[22:23], v[88:89]
	v_fma_f64 v[66:67], v[50:51], s[22:23], v[90:91]
	v_fma_f64 v[48:49], v[48:49], s[20:21], -v[100:101]
	v_fma_f64 v[50:51], v[50:51], s[20:21], -v[102:103]
	;; [unrolled: 1-line block ×4, first 2 shown]
	v_fma_f64 v[32:33], v[32:33], s[10:11], v[12:13]
	v_fma_f64 v[34:35], v[34:35], s[10:11], v[14:15]
	v_fma_f64 v[80:81], v[92:93], s[8:9], -v[88:89]
	v_fma_f64 v[82:83], v[94:95], s[8:9], -v[90:91]
	v_fma_f64 v[56:57], v[56:57], s[14:15], -v[60:61]
	v_fma_f64 v[58:59], v[58:59], s[14:15], -v[62:63]
	v_fma_f64 v[60:61], v[16:17], s[24:25], v[68:69]
	v_fma_f64 v[62:63], v[18:19], s[24:25], v[70:71]
	;; [unrolled: 1-line block ×6, first 2 shown]
	v_add_f64_e32 v[76:77], v[24:25], v[44:45]
	v_add_f64_e32 v[78:79], v[26:27], v[46:47]
	;; [unrolled: 1-line block ×6, first 2 shown]
	v_fma_f64 v[64:65], v[20:21], s[24:25], v[64:65]
	v_fma_f64 v[66:67], v[22:23], s[24:25], v[66:67]
	;; [unrolled: 1-line block ×4, first 2 shown]
	v_add_f64_e32 v[88:89], v[36:37], v[32:33]
	v_add_f64_e32 v[90:91], v[38:39], v[34:35]
	;; [unrolled: 1-line block ×4, first 2 shown]
	v_fma_f64 v[80:81], v[20:21], s[24:25], v[80:81]
	v_fma_f64 v[82:83], v[22:23], s[24:25], v[82:83]
	v_add_f64_e32 v[56:57], v[56:57], v[32:33]
	v_add_f64_e32 v[58:59], v[58:59], v[34:35]
	;; [unrolled: 1-line block ×3, first 2 shown]
	v_add_f64_e64 v[18:19], v[78:79], -v[60:61]
	v_add_f64_e32 v[20:21], v[42:43], v[52:53]
	v_add_f64_e64 v[22:23], v[54:55], -v[40:41]
	v_add_f64_e64 v[24:25], v[28:29], -v[70:71]
	v_add_f64_e32 v[26:27], v[68:69], v[30:31]
	v_add_f64_e32 v[28:29], v[70:71], v[28:29]
	v_add_f64_e64 v[30:31], v[30:31], -v[68:69]
	v_add_f64_e64 v[32:33], v[52:53], -v[42:43]
	v_add_f64_e32 v[34:35], v[40:41], v[54:55]
	v_add_f64_e64 v[36:37], v[76:77], -v[62:63]
	v_add_f64_e32 v[38:39], v[60:61], v[78:79]
	v_add_f64_e32 v[40:41], v[66:67], v[88:89]
	v_add_f64_e64 v[42:43], v[90:91], -v[64:65]
	v_add_f64_e32 v[44:45], v[86:87], v[72:73]
	v_add_f64_e64 v[46:47], v[74:75], -v[84:85]
	v_add_f64_e64 v[60:61], v[88:89], -v[66:67]
	v_add_f64_e32 v[62:63], v[64:65], v[90:91]
	v_add_f64_e64 v[48:49], v[56:57], -v[82:83]
	v_add_f64_e32 v[50:51], v[80:81], v[58:59]
	v_add_f64_e32 v[52:53], v[82:83], v[56:57]
	v_add_f64_e64 v[54:55], v[58:59], -v[80:81]
	v_add_f64_e64 v[56:57], v[72:73], -v[86:87]
	v_add_f64_e32 v[58:59], v[84:85], v[74:75]
	ds_store_b128 v181, v[8:11]
	ds_store_b128 v181, v[16:19] offset:352
	ds_store_b128 v181, v[20:23] offset:704
	;; [unrolled: 1-line block ×6, first 2 shown]
	ds_store_b128 v182, v[12:15]
	ds_store_b128 v182, v[40:43] offset:352
	ds_store_b128 v182, v[44:47] offset:704
	;; [unrolled: 1-line block ×6, first 2 shown]
	global_wb scope:SCOPE_SE
	s_wait_dscnt 0x0
	s_barrier_signal -1
	s_barrier_wait -1
	global_inv scope:SCOPE_SE
	ds_load_b128 v[8:11], v188 offset:2464
	ds_load_b128 v[12:15], v188 offset:4928
	;; [unrolled: 1-line block ×12, first 2 shown]
	s_wait_dscnt 0xb
	v_mul_f64_e32 v[56:57], v[222:223], v[10:11]
	v_mul_f64_e32 v[58:59], v[222:223], v[8:9]
	s_wait_dscnt 0xa
	v_mul_f64_e32 v[60:61], v[230:231], v[14:15]
	v_mul_f64_e32 v[62:63], v[230:231], v[12:13]
	;; [unrolled: 3-line block ×9, first 2 shown]
	v_mul_f64_e32 v[88:89], v[218:219], v[42:43]
	v_mul_f64_e32 v[90:91], v[218:219], v[40:41]
	v_fma_f64 v[8:9], v[220:221], v[8:9], v[56:57]
	v_fma_f64 v[10:11], v[220:221], v[10:11], -v[58:59]
	v_fma_f64 v[12:13], v[228:229], v[12:13], v[60:61]
	v_fma_f64 v[14:15], v[228:229], v[14:15], -v[62:63]
	;; [unrolled: 2-line block ×4, first 2 shown]
	s_wait_dscnt 0x1
	v_mul_f64_e32 v[56:57], v[242:243], v[50:51]
	v_mul_f64_e32 v[58:59], v[242:243], v[48:49]
	s_wait_dscnt 0x0
	v_mul_f64_e32 v[60:61], v[246:247], v[54:55]
	v_mul_f64_e32 v[62:63], v[246:247], v[52:53]
	v_fma_f64 v[24:25], v[248:249], v[24:25], v[72:73]
	v_fma_f64 v[26:27], v[248:249], v[26:27], -v[74:75]
	v_fma_f64 v[28:29], v[252:253], v[28:29], v[76:77]
	v_fma_f64 v[30:31], v[252:253], v[30:31], -v[78:79]
	;; [unrolled: 2-line block ×6, first 2 shown]
	v_add_f64_e32 v[40:41], v[8:9], v[16:17]
	v_add_f64_e32 v[42:43], v[10:11], v[18:19]
	;; [unrolled: 1-line block ×4, first 2 shown]
	v_fma_f64 v[48:49], v[240:241], v[48:49], v[56:57]
	v_fma_f64 v[50:51], v[240:241], v[50:51], -v[58:59]
	v_fma_f64 v[52:53], v[244:245], v[52:53], v[60:61]
	v_fma_f64 v[54:55], v[244:245], v[54:55], -v[62:63]
	v_add_f64_e64 v[12:13], v[12:13], -v[20:21]
	v_add_f64_e64 v[14:15], v[14:15], -v[22:23]
	;; [unrolled: 1-line block ×4, first 2 shown]
	v_add_f64_e32 v[56:57], v[24:25], v[32:33]
	v_add_f64_e32 v[58:59], v[26:27], v[4:5]
	;; [unrolled: 1-line block ×4, first 2 shown]
	v_add_f64_e64 v[18:19], v[28:29], -v[6:7]
	v_add_f64_e64 v[28:29], v[30:31], -v[0:1]
	v_add_f64_e32 v[64:65], v[2:3], v[36:37]
	v_add_f64_e32 v[66:67], v[34:35], v[38:39]
	v_add_f64_e64 v[20:21], v[36:37], -v[2:3]
	v_add_f64_e64 v[22:23], v[38:39], -v[34:35]
	;; [unrolled: 1-line block ×4, first 2 shown]
	v_add_f64_e32 v[2:3], v[44:45], v[40:41]
	v_add_f64_e32 v[16:17], v[46:47], v[42:43]
	;; [unrolled: 1-line block ×4, first 2 shown]
	v_add_f64_e64 v[30:31], v[52:53], -v[48:49]
	v_add_f64_e64 v[34:35], v[54:55], -v[50:51]
	;; [unrolled: 1-line block ×4, first 2 shown]
	v_add_f64_e32 v[4:5], v[60:61], v[56:57]
	v_add_f64_e32 v[32:33], v[62:63], v[58:59]
	v_add_f64_e64 v[36:37], v[40:41], -v[64:65]
	v_add_f64_e64 v[38:39], v[42:43], -v[66:67]
	;; [unrolled: 1-line block ×10, first 2 shown]
	v_add_f64_e32 v[12:13], v[20:21], v[12:13]
	v_add_f64_e32 v[14:15], v[22:23], v[14:15]
	v_add_f64_e64 v[20:21], v[8:9], -v[20:21]
	v_add_f64_e64 v[22:23], v[10:11], -v[22:23]
	v_add_f64_e32 v[64:65], v[64:65], v[2:3]
	v_add_f64_e32 v[16:17], v[66:67], v[16:17]
	v_add_f64_e64 v[66:67], v[56:57], -v[0:1]
	v_add_f64_e64 v[72:73], v[58:59], -v[6:7]
	;; [unrolled: 1-line block ×6, first 2 shown]
	v_add_f64_e32 v[18:19], v[30:31], v[18:19]
	v_add_f64_e32 v[28:29], v[34:35], v[28:29]
	;; [unrolled: 1-line block ×4, first 2 shown]
	ds_load_b128 v[0:3], v188
	ds_load_b128 v[4:7], v188 offset:1232
	v_mul_f64_e32 v[88:89], s[8:9], v[68:69]
	v_mul_f64_e32 v[36:37], s[12:13], v[36:37]
	;; [unrolled: 1-line block ×8, first 2 shown]
	v_add_f64_e64 v[30:31], v[24:25], -v[30:31]
	v_add_f64_e64 v[34:35], v[26:27], -v[34:35]
	v_mul_f64_e32 v[92:93], s[8:9], v[78:79]
	v_mul_f64_e32 v[94:95], s[8:9], v[80:81]
	v_add_f64_e64 v[56:57], v[60:61], -v[56:57]
	v_add_f64_e64 v[58:59], v[62:63], -v[58:59]
	v_add_f64_e32 v[8:9], v[12:13], v[8:9]
	v_add_f64_e32 v[10:11], v[14:15], v[10:11]
	s_wait_dscnt 0x1
	v_add_f64_e32 v[0:1], v[0:1], v[64:65]
	v_add_f64_e32 v[2:3], v[2:3], v[16:17]
	v_mul_f64_e32 v[66:67], s[12:13], v[66:67]
	v_mul_f64_e32 v[72:73], s[12:13], v[72:73]
	;; [unrolled: 1-line block ×6, first 2 shown]
	v_add_f64_e32 v[12:13], v[18:19], v[24:25]
	v_add_f64_e32 v[14:15], v[28:29], v[26:27]
	s_wait_dscnt 0x0
	v_add_f64_e32 v[4:5], v[4:5], v[82:83]
	v_add_f64_e32 v[6:7], v[6:7], v[32:33]
	v_fma_f64 v[18:19], v[48:49], s[2:3], v[36:37]
	v_fma_f64 v[24:25], v[50:51], s[2:3], v[38:39]
	v_fma_f64 v[26:27], v[40:41], s[14:15], -v[44:45]
	v_fma_f64 v[28:29], v[42:43], s[14:15], -v[46:47]
	v_fma_f64 v[44:45], v[20:21], s[22:23], v[52:53]
	v_fma_f64 v[46:47], v[22:23], s[22:23], v[54:55]
	v_fma_f64 v[48:49], v[68:69], s[8:9], -v[52:53]
	v_fma_f64 v[20:21], v[20:21], s[20:21], -v[88:89]
	;; [unrolled: 1-line block ×6, first 2 shown]
	v_fma_f64 v[52:53], v[64:65], s[10:11], v[0:1]
	v_fma_f64 v[16:17], v[16:17], s[10:11], v[2:3]
	;; [unrolled: 1-line block ×6, first 2 shown]
	v_fma_f64 v[68:69], v[78:79], s[8:9], -v[74:75]
	v_fma_f64 v[70:71], v[80:81], s[8:9], -v[76:77]
	;; [unrolled: 1-line block ×4, first 2 shown]
	v_fma_f64 v[74:75], v[82:83], s[10:11], v[4:5]
	v_fma_f64 v[32:33], v[32:33], s[10:11], v[6:7]
	v_fma_f64 v[66:67], v[56:57], s[18:19], -v[66:67]
	v_fma_f64 v[72:73], v[58:59], s[18:19], -v[72:73]
	;; [unrolled: 1-line block ×4, first 2 shown]
	v_mad_co_u64_u32 v[60:61], null, s6, v180, 0
	v_fma_f64 v[44:45], v[8:9], s[24:25], v[44:45]
	v_fma_f64 v[46:47], v[10:11], s[24:25], v[46:47]
	;; [unrolled: 1-line block ×5, first 2 shown]
	s_mul_u64 s[2:3], s[4:5], 0x21b0
	v_fma_f64 v[50:51], v[10:11], s[24:25], v[50:51]
	v_add_f64_e32 v[78:79], v[18:19], v[52:53]
	v_add_f64_e32 v[80:81], v[24:25], v[16:17]
	;; [unrolled: 1-line block ×6, first 2 shown]
	v_fma_f64 v[54:55], v[12:13], s[24:25], v[54:55]
	v_fma_f64 v[52:53], v[14:15], s[24:25], v[64:65]
	;; [unrolled: 1-line block ×6, first 2 shown]
	v_add_f64_e32 v[84:85], v[40:41], v[74:75]
	v_add_f64_e32 v[86:87], v[42:43], v[32:33]
	;; [unrolled: 1-line block ×6, first 2 shown]
	v_mad_co_u64_u32 v[74:75], null, s4, v202, 0
	v_mov_b32_e32 v8, v61
	s_delay_alu instid0(VALU_DEP_1) | instskip(NEXT) | instid1(VALU_DEP_3)
	v_mad_co_u64_u32 v[8:9], null, s7, v180, v[8:9]
	v_mov_b32_e32 v9, v75
	s_delay_alu instid0(VALU_DEP_1) | instskip(NEXT) | instid1(VALU_DEP_3)
	v_mad_co_u64_u32 v[88:89], null, s5, v202, v[9:10]
	v_mov_b32_e32 v61, v8
	v_add_f64_e32 v[8:9], v[46:47], v[78:79]
	v_add_f64_e64 v[10:11], v[80:81], -v[44:45]
	v_add_f64_e32 v[12:13], v[76:77], v[24:25]
	v_add_f64_e64 v[14:15], v[36:37], -v[62:63]
	v_add_f64_e64 v[16:17], v[20:21], -v[50:51]
	v_add_f64_e32 v[18:19], v[48:49], v[22:23]
	v_add_f64_e32 v[20:21], v[50:51], v[20:21]
	v_add_f64_e64 v[22:23], v[22:23], -v[48:49]
	v_add_f64_e64 v[24:25], v[24:25], -v[76:77]
	v_add_f64_e32 v[26:27], v[62:63], v[36:37]
	v_add_f64_e64 v[28:29], v[78:79], -v[46:47]
	v_add_f64_e32 v[30:31], v[44:45], v[80:81]
	v_add_f64_e32 v[32:33], v[52:53], v[84:85]
	v_add_f64_e64 v[34:35], v[86:87], -v[54:55]
	v_add_f64_e32 v[36:37], v[82:83], v[66:67]
	v_add_f64_e64 v[38:39], v[72:73], -v[70:71]
	v_add_f64_e64 v[40:41], v[56:57], -v[68:69]
	v_add_f64_e32 v[42:43], v[64:65], v[58:59]
	v_add_f64_e32 v[44:45], v[68:69], v[56:57]
	v_add_f64_e64 v[46:47], v[58:59], -v[64:65]
	v_add_f64_e64 v[48:49], v[66:67], -v[82:83]
	v_add_f64_e32 v[50:51], v[70:71], v[72:73]
	v_add_f64_e64 v[52:53], v[84:85], -v[52:53]
	v_add_f64_e32 v[54:55], v[54:55], v[86:87]
	ds_store_b128 v188, v[0:3]
	ds_store_b128 v188, v[8:11] offset:2464
	ds_store_b128 v188, v[12:15] offset:4928
	;; [unrolled: 1-line block ×13, first 2 shown]
	global_wb scope:SCOPE_SE
	s_wait_dscnt 0x0
	s_barrier_signal -1
	s_barrier_wait -1
	global_inv scope:SCOPE_SE
	ds_load_b128 v[0:3], v188
	ds_load_b128 v[4:7], v188 offset:8624
	ds_load_b128 v[8:11], v188 offset:1232
	;; [unrolled: 1-line block ×13, first 2 shown]
	s_clause 0x1
	scratch_load_b128 v[130:133], off, off offset:96 th:TH_LOAD_LU
	scratch_load_b128 v[126:129], off, off offset:80 th:TH_LOAD_LU
	v_mov_b32_e32 v75, v88
	scratch_load_b128 v[150:153], off, off offset:224 th:TH_LOAD_LU ; 16-byte Folded Reload
	v_lshlrev_b64_e32 v[56:57], 4, v[60:61]
	scratch_load_b128 v[140:143], off, off offset:160 th:TH_LOAD_LU ; 16-byte Folded Reload
	v_lshlrev_b64_e32 v[58:59], 4, v[74:75]
	v_add_co_u32 v56, vcc_lo, s0, v56
	s_wait_alu 0xfffd
	v_add_co_ci_u32_e32 v57, vcc_lo, s1, v57, vcc_lo
	s_movk_i32 s0, 0xe320
	s_delay_alu instid0(VALU_DEP_2) | instskip(SKIP_1) | instid1(VALU_DEP_2)
	v_add_co_u32 v56, vcc_lo, v56, v58
	s_wait_alu 0xfffd
	v_add_co_ci_u32_e32 v57, vcc_lo, v57, v59, vcc_lo
	s_mov_b32 s1, -1
	s_wait_alu 0xfffe
	v_add_co_u32 v58, vcc_lo, v56, s2
	s_wait_alu 0xfffd
	v_add_co_ci_u32_e32 v59, vcc_lo, s3, v57, vcc_lo
	s_mul_u64 s[0:1], s[4:5], s[0:1]
	s_mov_b32 s4, 0xdbe74d6b
	s_wait_alu 0xfffe
	v_add_co_u32 v60, vcc_lo, v58, s0
	s_wait_alu 0xfffd
	v_add_co_ci_u32_e32 v61, vcc_lo, s1, v59, vcc_lo
	s_mov_b32 s5, 0x3f4e65a3
	s_delay_alu instid0(VALU_DEP_2) | instskip(SKIP_1) | instid1(VALU_DEP_2)
	v_add_co_u32 v62, vcc_lo, v60, s2
	s_wait_alu 0xfffd
	v_add_co_ci_u32_e32 v63, vcc_lo, s3, v61, vcc_lo
	s_delay_alu instid0(VALU_DEP_2) | instskip(SKIP_1) | instid1(VALU_DEP_2)
	v_add_co_u32 v120, vcc_lo, v62, s0
	s_wait_alu 0xfffd
	v_add_co_ci_u32_e32 v121, vcc_lo, s1, v63, vcc_lo
	;; [unrolled: 4-line block ×4, first 2 shown]
	s_wait_loadcnt_dscnt 0x30d
	v_mul_f64_e32 v[64:65], v[132:133], v[2:3]
	v_mul_f64_e32 v[66:67], v[132:133], v[0:1]
	scratch_load_b128 v[132:135], off, off offset:112 th:TH_LOAD_LU ; 16-byte Folded Reload
	s_wait_loadcnt_dscnt 0x30c
	v_mul_f64_e32 v[68:69], v[128:129], v[6:7]
	v_mul_f64_e32 v[70:71], v[128:129], v[4:5]
	s_wait_loadcnt_dscnt 0x10a
	v_mul_f64_e32 v[80:81], v[142:143], v[14:15]
	v_mul_f64_e32 v[82:83], v[142:143], v[12:13]
	scratch_load_b128 v[142:145], off, off offset:176 th:TH_LOAD_LU ; 16-byte Folded Reload
	v_fma_f64 v[0:1], v[130:131], v[0:1], v[64:65]
	v_fma_f64 v[2:3], v[130:131], v[2:3], -v[66:67]
	v_fma_f64 v[4:5], v[126:127], v[4:5], v[68:69]
	v_fma_f64 v[6:7], v[126:127], v[6:7], -v[70:71]
	v_fma_f64 v[64:65], v[140:141], v[12:13], v[80:81]
	v_fma_f64 v[66:67], v[140:141], v[14:15], -v[82:83]
	s_wait_alu 0xfffe
	v_mul_f64_e32 v[0:1], s[4:5], v[0:1]
	v_mul_f64_e32 v[2:3], s[4:5], v[2:3]
	;; [unrolled: 1-line block ×4, first 2 shown]
	s_wait_loadcnt 0x1
	v_mul_f64_e32 v[72:73], v[134:135], v[10:11]
	v_mul_f64_e32 v[74:75], v[134:135], v[8:9]
	scratch_load_b128 v[134:137], off, off offset:128 th:TH_LOAD_LU ; 16-byte Folded Reload
	s_wait_loadcnt_dscnt 0x107
	v_mul_f64_e32 v[88:89], v[144:145], v[26:27]
	v_mul_f64_e32 v[90:91], v[144:145], v[24:25]
	scratch_load_b128 v[144:147], off, off offset:192 th:TH_LOAD_LU ; 16-byte Folded Reload
	v_fma_f64 v[8:9], v[132:133], v[8:9], v[72:73]
	v_fma_f64 v[10:11], v[132:133], v[10:11], -v[74:75]
	v_fma_f64 v[24:25], v[142:143], v[24:25], v[88:89]
	v_fma_f64 v[26:27], v[142:143], v[26:27], -v[90:91]
	s_delay_alu instid0(VALU_DEP_4) | instskip(NEXT) | instid1(VALU_DEP_4)
	v_mul_f64_e32 v[8:9], s[4:5], v[8:9]
	v_mul_f64_e32 v[10:11], s[4:5], v[10:11]
	s_delay_alu instid0(VALU_DEP_4) | instskip(NEXT) | instid1(VALU_DEP_4)
	v_mul_f64_e32 v[24:25], s[4:5], v[24:25]
	v_mul_f64_e32 v[26:27], s[4:5], v[26:27]
	s_wait_loadcnt 0x1
	v_mul_f64_e32 v[76:77], v[136:137], v[18:19]
	v_mul_f64_e32 v[78:79], v[136:137], v[16:17]
	scratch_load_b128 v[136:139], off, off offset:144 th:TH_LOAD_LU ; 16-byte Folded Reload
	s_wait_loadcnt_dscnt 0x106
	v_mul_f64_e32 v[92:93], v[146:147], v[30:31]
	v_mul_f64_e32 v[94:95], v[146:147], v[28:29]
	scratch_load_b128 v[146:149], off, off offset:208 th:TH_LOAD_LU ; 16-byte Folded Reload
	s_wait_dscnt 0x4
	v_mul_f64_e32 v[96:97], v[152:153], v[38:39]
	v_mul_f64_e32 v[98:99], v[152:153], v[36:37]
	scratch_load_b128 v[152:155], off, off offset:240 th:TH_LOAD_LU ; 16-byte Folded Reload
	v_fma_f64 v[16:17], v[134:135], v[16:17], v[76:77]
	v_fma_f64 v[18:19], v[134:135], v[18:19], -v[78:79]
	v_add_co_u32 v76, vcc_lo, v124, s2
	s_wait_alu 0xfffd
	v_add_co_ci_u32_e32 v77, vcc_lo, s3, v125, vcc_lo
	v_fma_f64 v[28:29], v[144:145], v[28:29], v[92:93]
	v_fma_f64 v[30:31], v[144:145], v[30:31], -v[94:95]
	v_fma_f64 v[36:37], v[150:151], v[36:37], v[96:97]
	v_fma_f64 v[38:39], v[150:151], v[38:39], -v[98:99]
	v_add_co_u32 v78, vcc_lo, v76, s0
	s_wait_alu 0xfffd
	v_add_co_ci_u32_e32 v79, vcc_lo, s1, v77, vcc_lo
	v_mul_f64_e32 v[12:13], s[4:5], v[16:17]
	v_mul_f64_e32 v[14:15], s[4:5], v[18:19]
	;; [unrolled: 1-line block ×4, first 2 shown]
	v_add_co_u32 v64, vcc_lo, v78, s2
	s_wait_alu 0xfffd
	v_add_co_ci_u32_e32 v65, vcc_lo, s3, v79, vcc_lo
	v_mul_f64_e32 v[28:29], s[4:5], v[28:29]
	v_mul_f64_e32 v[30:31], s[4:5], v[30:31]
	v_add_co_u32 v66, vcc_lo, v64, s0
	s_wait_alu 0xfffd
	v_add_co_ci_u32_e32 v67, vcc_lo, s1, v65, vcc_lo
	s_wait_loadcnt 0x2
	v_mul_f64_e32 v[84:85], v[138:139], v[22:23]
	v_mul_f64_e32 v[86:87], v[138:139], v[20:21]
	s_wait_loadcnt 0x1
	v_mul_f64_e32 v[100:101], v[148:149], v[34:35]
	v_mul_f64_e32 v[102:103], v[148:149], v[32:33]
	s_wait_loadcnt_dscnt 0x3
	v_mul_f64_e32 v[104:105], v[154:155], v[42:43]
	v_mul_f64_e32 v[106:107], v[154:155], v[40:41]
	scratch_load_b128 v[154:157], off, off offset:256 th:TH_LOAD_LU ; 16-byte Folded Reload
	v_fma_f64 v[20:21], v[136:137], v[20:21], v[84:85]
	v_fma_f64 v[22:23], v[136:137], v[22:23], -v[86:87]
	v_fma_f64 v[68:69], v[146:147], v[32:33], v[100:101]
	v_fma_f64 v[70:71], v[146:147], v[34:35], -v[102:103]
	v_mul_f64_e32 v[32:33], s[4:5], v[36:37]
	v_fma_f64 v[40:41], v[152:153], v[40:41], v[104:105]
	v_fma_f64 v[42:43], v[152:153], v[42:43], -v[106:107]
	v_mul_f64_e32 v[34:35], s[4:5], v[38:39]
	v_mul_f64_e32 v[20:21], s[4:5], v[20:21]
	v_mul_f64_e32 v[22:23], s[4:5], v[22:23]
	v_mul_f64_e32 v[36:37], s[4:5], v[68:69]
	v_mul_f64_e32 v[38:39], s[4:5], v[70:71]
	v_add_co_u32 v68, vcc_lo, v66, s2
	v_mul_f64_e32 v[40:41], s[4:5], v[40:41]
	v_mul_f64_e32 v[42:43], s[4:5], v[42:43]
	s_wait_alu 0xfffd
	v_add_co_ci_u32_e32 v69, vcc_lo, s3, v67, vcc_lo
	v_add_co_u32 v70, vcc_lo, v68, s0
	s_wait_alu 0xfffd
	s_delay_alu instid0(VALU_DEP_2)
	v_add_co_ci_u32_e32 v71, vcc_lo, s1, v69, vcc_lo
	s_wait_loadcnt_dscnt 0x1
	v_mul_f64_e32 v[108:109], v[156:157], v[50:51]
	v_mul_f64_e32 v[110:111], v[156:157], v[48:49]
	scratch_load_b128 v[156:159], off, off offset:272 th:TH_LOAD_LU ; 16-byte Folded Reload
	v_fma_f64 v[48:49], v[154:155], v[48:49], v[108:109]
	v_fma_f64 v[50:51], v[154:155], v[50:51], -v[110:111]
	s_wait_loadcnt 0x0
	v_mul_f64_e32 v[112:113], v[158:159], v[46:47]
	v_mul_f64_e32 v[114:115], v[158:159], v[44:45]
	scratch_load_b128 v[158:161], off, off offset:288 th:TH_LOAD_LU ; 16-byte Folded Reload
	v_fma_f64 v[72:73], v[156:157], v[44:45], v[112:113]
	v_fma_f64 v[74:75], v[156:157], v[46:47], -v[114:115]
	v_mul_f64_e32 v[44:45], s[4:5], v[48:49]
	v_mul_f64_e32 v[46:47], s[4:5], v[50:51]
	s_delay_alu instid0(VALU_DEP_4) | instskip(NEXT) | instid1(VALU_DEP_4)
	v_mul_f64_e32 v[48:49], s[4:5], v[72:73]
	v_mul_f64_e32 v[50:51], s[4:5], v[74:75]
	v_add_co_u32 v72, vcc_lo, v70, s2
	s_wait_alu 0xfffd
	v_add_co_ci_u32_e32 v73, vcc_lo, s3, v71, vcc_lo
	s_wait_loadcnt_dscnt 0x0
	v_mul_f64_e32 v[116:117], v[160:161], v[54:55]
	v_mul_f64_e32 v[118:119], v[160:161], v[52:53]
	s_delay_alu instid0(VALU_DEP_2) | instskip(NEXT) | instid1(VALU_DEP_2)
	v_fma_f64 v[52:53], v[158:159], v[52:53], v[116:117]
	v_fma_f64 v[54:55], v[158:159], v[54:55], -v[118:119]
	s_delay_alu instid0(VALU_DEP_2) | instskip(NEXT) | instid1(VALU_DEP_2)
	v_mul_f64_e32 v[52:53], s[4:5], v[52:53]
	v_mul_f64_e32 v[54:55], s[4:5], v[54:55]
	s_clause 0x4
	global_store_b128 v[56:57], v[0:3], off
	global_store_b128 v[58:59], v[4:7], off
	;; [unrolled: 1-line block ×14, first 2 shown]
.LBB0_10:
	s_nop 0
	s_sendmsg sendmsg(MSG_DEALLOC_VGPRS)
	s_endpgm
	.section	.rodata,"a",@progbits
	.p2align	6, 0x0
	.amdhsa_kernel bluestein_single_fwd_len1078_dim1_dp_op_CI_CI
		.amdhsa_group_segment_fixed_size 51744
		.amdhsa_private_segment_fixed_size 512
		.amdhsa_kernarg_size 104
		.amdhsa_user_sgpr_count 2
		.amdhsa_user_sgpr_dispatch_ptr 0
		.amdhsa_user_sgpr_queue_ptr 0
		.amdhsa_user_sgpr_kernarg_segment_ptr 1
		.amdhsa_user_sgpr_dispatch_id 0
		.amdhsa_user_sgpr_private_segment_size 0
		.amdhsa_wavefront_size32 1
		.amdhsa_uses_dynamic_stack 0
		.amdhsa_enable_private_segment 1
		.amdhsa_system_sgpr_workgroup_id_x 1
		.amdhsa_system_sgpr_workgroup_id_y 0
		.amdhsa_system_sgpr_workgroup_id_z 0
		.amdhsa_system_sgpr_workgroup_info 0
		.amdhsa_system_vgpr_workitem_id 0
		.amdhsa_next_free_vgpr 256
		.amdhsa_next_free_sgpr 40
		.amdhsa_reserve_vcc 1
		.amdhsa_float_round_mode_32 0
		.amdhsa_float_round_mode_16_64 0
		.amdhsa_float_denorm_mode_32 3
		.amdhsa_float_denorm_mode_16_64 3
		.amdhsa_fp16_overflow 0
		.amdhsa_workgroup_processor_mode 1
		.amdhsa_memory_ordered 1
		.amdhsa_forward_progress 0
		.amdhsa_round_robin_scheduling 0
		.amdhsa_exception_fp_ieee_invalid_op 0
		.amdhsa_exception_fp_denorm_src 0
		.amdhsa_exception_fp_ieee_div_zero 0
		.amdhsa_exception_fp_ieee_overflow 0
		.amdhsa_exception_fp_ieee_underflow 0
		.amdhsa_exception_fp_ieee_inexact 0
		.amdhsa_exception_int_div_zero 0
	.end_amdhsa_kernel
	.text
.Lfunc_end0:
	.size	bluestein_single_fwd_len1078_dim1_dp_op_CI_CI, .Lfunc_end0-bluestein_single_fwd_len1078_dim1_dp_op_CI_CI
                                        ; -- End function
	.section	.AMDGPU.csdata,"",@progbits
; Kernel info:
; codeLenInByte = 23660
; NumSgprs: 42
; NumVgprs: 256
; ScratchSize: 512
; MemoryBound: 0
; FloatMode: 240
; IeeeMode: 1
; LDSByteSize: 51744 bytes/workgroup (compile time only)
; SGPRBlocks: 5
; VGPRBlocks: 31
; NumSGPRsForWavesPerEU: 42
; NumVGPRsForWavesPerEU: 256
; Occupancy: 4
; WaveLimiterHint : 1
; COMPUTE_PGM_RSRC2:SCRATCH_EN: 1
; COMPUTE_PGM_RSRC2:USER_SGPR: 2
; COMPUTE_PGM_RSRC2:TRAP_HANDLER: 0
; COMPUTE_PGM_RSRC2:TGID_X_EN: 1
; COMPUTE_PGM_RSRC2:TGID_Y_EN: 0
; COMPUTE_PGM_RSRC2:TGID_Z_EN: 0
; COMPUTE_PGM_RSRC2:TIDIG_COMP_CNT: 0
	.text
	.p2alignl 7, 3214868480
	.fill 96, 4, 3214868480
	.type	__hip_cuid_65b08d781f9d0ffa,@object ; @__hip_cuid_65b08d781f9d0ffa
	.section	.bss,"aw",@nobits
	.globl	__hip_cuid_65b08d781f9d0ffa
__hip_cuid_65b08d781f9d0ffa:
	.byte	0                               ; 0x0
	.size	__hip_cuid_65b08d781f9d0ffa, 1

	.ident	"AMD clang version 19.0.0git (https://github.com/RadeonOpenCompute/llvm-project roc-6.4.0 25133 c7fe45cf4b819c5991fe208aaa96edf142730f1d)"
	.section	".note.GNU-stack","",@progbits
	.addrsig
	.addrsig_sym __hip_cuid_65b08d781f9d0ffa
	.amdgpu_metadata
---
amdhsa.kernels:
  - .args:
      - .actual_access:  read_only
        .address_space:  global
        .offset:         0
        .size:           8
        .value_kind:     global_buffer
      - .actual_access:  read_only
        .address_space:  global
        .offset:         8
        .size:           8
        .value_kind:     global_buffer
      - .actual_access:  read_only
        .address_space:  global
        .offset:         16
        .size:           8
        .value_kind:     global_buffer
      - .actual_access:  read_only
        .address_space:  global
        .offset:         24
        .size:           8
        .value_kind:     global_buffer
      - .actual_access:  read_only
        .address_space:  global
        .offset:         32
        .size:           8
        .value_kind:     global_buffer
      - .offset:         40
        .size:           8
        .value_kind:     by_value
      - .address_space:  global
        .offset:         48
        .size:           8
        .value_kind:     global_buffer
      - .address_space:  global
        .offset:         56
        .size:           8
        .value_kind:     global_buffer
      - .address_space:  global
        .offset:         64
        .size:           8
        .value_kind:     global_buffer
      - .address_space:  global
        .offset:         72
        .size:           8
        .value_kind:     global_buffer
      - .offset:         80
        .size:           4
        .value_kind:     by_value
      - .address_space:  global
        .offset:         88
        .size:           8
        .value_kind:     global_buffer
      - .address_space:  global
        .offset:         96
        .size:           8
        .value_kind:     global_buffer
    .group_segment_fixed_size: 51744
    .kernarg_segment_align: 8
    .kernarg_segment_size: 104
    .language:       OpenCL C
    .language_version:
      - 2
      - 0
    .max_flat_workgroup_size: 231
    .name:           bluestein_single_fwd_len1078_dim1_dp_op_CI_CI
    .private_segment_fixed_size: 512
    .sgpr_count:     42
    .sgpr_spill_count: 0
    .symbol:         bluestein_single_fwd_len1078_dim1_dp_op_CI_CI.kd
    .uniform_work_group_size: 1
    .uses_dynamic_stack: false
    .vgpr_count:     256
    .vgpr_spill_count: 147
    .wavefront_size: 32
    .workgroup_processor_mode: 1
amdhsa.target:   amdgcn-amd-amdhsa--gfx1201
amdhsa.version:
  - 1
  - 2
...

	.end_amdgpu_metadata
